;; amdgpu-corpus repo=ROCm/rocFFT kind=compiled arch=gfx906 opt=O3
	.text
	.amdgcn_target "amdgcn-amd-amdhsa--gfx906"
	.amdhsa_code_object_version 6
	.protected	bluestein_single_fwd_len1890_dim1_sp_op_CI_CI ; -- Begin function bluestein_single_fwd_len1890_dim1_sp_op_CI_CI
	.globl	bluestein_single_fwd_len1890_dim1_sp_op_CI_CI
	.p2align	8
	.type	bluestein_single_fwd_len1890_dim1_sp_op_CI_CI,@function
bluestein_single_fwd_len1890_dim1_sp_op_CI_CI: ; @bluestein_single_fwd_len1890_dim1_sp_op_CI_CI
; %bb.0:
	s_load_dwordx4 s[12:15], s[4:5], 0x28
	v_mul_u32_u24_e32 v1, 0x209, v0
	v_add_u32_sdwa v150, s6, v1 dst_sel:DWORD dst_unused:UNUSED_PAD src0_sel:DWORD src1_sel:WORD_1
	v_mov_b32_e32 v151, 0
	s_waitcnt lgkmcnt(0)
	v_cmp_gt_u64_e32 vcc, s[12:13], v[150:151]
	s_and_saveexec_b64 s[0:1], vcc
	s_cbranch_execz .LBB0_23
; %bb.1:
	s_load_dwordx4 s[0:3], s[4:5], 0x18
	s_load_dwordx2 s[16:17], s[4:5], 0x0
	s_waitcnt lgkmcnt(0)
	s_load_dwordx4 s[8:11], s[0:1], 0x0
	s_movk_i32 s0, 0x7e
	v_mul_lo_u16_sdwa v1, v1, s0 dst_sel:DWORD dst_unused:UNUSED_PAD src0_sel:WORD_1 src1_sel:DWORD
	v_sub_u16_e32 v178, v0, v1
	v_lshlrev_b32_e32 v177, 3, v178
	s_waitcnt lgkmcnt(0)
	v_mad_u64_u32 v[0:1], s[0:1], s10, v150, 0
	v_mad_u64_u32 v[2:3], s[0:1], s8, v178, 0
	v_add_co_u32_e64 v175, s[6:7], s16, v177
	v_mad_u64_u32 v[4:5], s[0:1], s11, v150, v[1:2]
	v_mad_u64_u32 v[5:6], s[0:1], s9, v178, v[3:4]
	v_mov_b32_e32 v1, v4
	v_lshlrev_b64 v[0:1], 3, v[0:1]
	v_mov_b32_e32 v6, s15
	v_mov_b32_e32 v3, v5
	v_add_co_u32_e32 v4, vcc, s14, v0
	v_addc_co_u32_e32 v5, vcc, v6, v1, vcc
	v_lshlrev_b64 v[0:1], 3, v[2:3]
	s_mul_i32 s0, s9, 0x3b1
	s_mul_hi_u32 s1, s8, 0x3b1
	v_add_co_u32_e32 v0, vcc, v4, v0
	v_mov_b32_e32 v2, s17
	s_add_i32 s1, s1, s0
	s_mul_i32 s0, s8, 0x3b1
	v_addc_co_u32_e32 v1, vcc, v5, v1, vcc
	v_addc_co_u32_e64 v176, vcc, 0, v2, s[6:7]
	s_lshl_b64 s[14:15], s[0:1], 3
	v_mov_b32_e32 v32, s15
	v_add_co_u32_e32 v2, vcc, s14, v0
	v_addc_co_u32_e32 v3, vcc, v1, v32, vcc
	s_movk_i32 s0, 0x1000
	s_mul_hi_u32 s1, s8, 0xfffffccd
	global_load_dwordx2 v[4:5], v[0:1], off
	global_load_dwordx2 v[6:7], v[2:3], off
	v_add_co_u32_e32 v0, vcc, s0, v175
	s_mul_i32 s0, s9, 0xfffffccd
	s_sub_i32 s1, s1, s8
	s_add_i32 s1, s1, s0
	s_mul_i32 s0, s8, 0xfffffccd
	v_addc_co_u32_e32 v1, vcc, 0, v176, vcc
	s_lshl_b64 s[18:19], s[0:1], 3
	v_mov_b32_e32 v30, s19
	v_add_co_u32_e32 v2, vcc, s18, v2
	v_addc_co_u32_e32 v3, vcc, v3, v30, vcc
	v_add_co_u32_e32 v8, vcc, s14, v2
	v_addc_co_u32_e32 v9, vcc, v3, v32, vcc
	s_movk_i32 s0, 0x2000
	global_load_dwordx2 v[157:158], v[0:1], off offset:3464
	global_load_dwordx2 v[159:160], v177, s[16:17]
	global_load_dwordx2 v[153:154], v177, s[16:17] offset:1008
	global_load_dwordx2 v[10:11], v[2:3], off
	global_load_dwordx2 v[12:13], v[8:9], off
	v_add_co_u32_e32 v2, vcc, s0, v175
	v_addc_co_u32_e32 v3, vcc, 0, v176, vcc
	v_add_co_u32_e32 v8, vcc, s18, v8
	v_addc_co_u32_e32 v9, vcc, v9, v30, vcc
	global_load_dwordx2 v[14:15], v[8:9], off
	v_add_co_u32_e32 v8, vcc, s14, v8
	v_addc_co_u32_e32 v9, vcc, v9, v32, vcc
	global_load_dwordx2 v[16:17], v[8:9], off
	global_load_dwordx2 v[155:156], v[2:3], off offset:376
	global_load_dwordx2 v[146:147], v[2:3], off offset:1384
	v_add_co_u32_e32 v8, vcc, s18, v8
	v_addc_co_u32_e32 v9, vcc, v9, v30, vcc
	global_load_dwordx2 v[18:19], v[8:9], off
	global_load_dwordx2 v[151:152], v177, s[16:17] offset:2016
	global_load_dwordx2 v[144:145], v177, s[16:17] offset:3024
	v_add_co_u32_e32 v8, vcc, s14, v8
	v_addc_co_u32_e32 v9, vcc, v9, v32, vcc
	global_load_dwordx2 v[20:21], v[8:9], off
	v_add_co_u32_e32 v8, vcc, s18, v8
	v_addc_co_u32_e32 v9, vcc, v9, v30, vcc
	global_load_dwordx2 v[22:23], v[8:9], off
	global_load_dwordx2 v[142:143], v177, s[16:17] offset:4032
	v_add_co_u32_e32 v8, vcc, s14, v8
	v_addc_co_u32_e32 v9, vcc, v9, v32, vcc
	global_load_dwordx2 v[24:25], v[8:9], off
	global_load_dwordx2 v[148:149], v[2:3], off offset:2392
	global_load_dwordx2 v[140:141], v[2:3], off offset:3400
	v_add_co_u32_e32 v2, vcc, s18, v8
	v_addc_co_u32_e32 v3, vcc, v9, v30, vcc
	global_load_dwordx2 v[26:27], v[2:3], off
	global_load_dwordx2 v[138:139], v[0:1], off offset:944
	v_add_co_u32_e32 v2, vcc, s14, v2
	v_addc_co_u32_e32 v3, vcc, v3, v32, vcc
	s_movk_i32 s0, 0x3000
	v_add_co_u32_e32 v8, vcc, s0, v175
	v_addc_co_u32_e32 v9, vcc, 0, v176, vcc
	global_load_dwordx2 v[28:29], v[2:3], off
	v_add_co_u32_e32 v2, vcc, s18, v2
	v_addc_co_u32_e32 v3, vcc, v3, v30, vcc
	global_load_dwordx2 v[136:137], v[8:9], off offset:312
	global_load_dwordx2 v[30:31], v[2:3], off
	global_load_dwordx2 v[134:135], v[0:1], off offset:1952
	v_add_co_u32_e32 v0, vcc, s14, v2
	v_addc_co_u32_e32 v1, vcc, v3, v32, vcc
	global_load_dwordx2 v[2:3], v[0:1], off
	global_load_dwordx2 v[132:133], v[8:9], off offset:1320
	s_load_dwordx2 s[12:13], s[4:5], 0x38
	s_load_dwordx4 s[8:11], s[2:3], 0x0
	v_cmp_gt_u16_e64 s[0:1], 63, v178
	s_waitcnt vmcnt(24)
	v_mul_f32_e32 v8, v5, v160
	v_fmac_f32_e32 v8, v4, v159
	v_mul_f32_e32 v4, v4, v160
	v_fma_f32 v9, v5, v159, -v4
	v_mul_f32_e32 v4, v7, v158
	v_mul_f32_e32 v5, v6, v158
	v_fmac_f32_e32 v4, v6, v157
	v_fma_f32 v5, v7, v157, -v5
	ds_write_b64 v177, v[4:5] offset:7560
	s_waitcnt vmcnt(22)
	v_mul_f32_e32 v4, v11, v154
	v_mul_f32_e32 v5, v10, v154
	v_fmac_f32_e32 v4, v10, v153
	v_fma_f32 v5, v11, v153, -v5
	ds_write2_b64 v177, v[8:9], v[4:5] offset1:126
	s_waitcnt vmcnt(18)
	v_mul_f32_e32 v4, v13, v156
	v_mul_f32_e32 v5, v12, v156
	s_waitcnt vmcnt(17)
	v_mul_f32_e32 v9, v17, v147
	v_mul_f32_e32 v8, v16, v147
	v_fmac_f32_e32 v4, v12, v155
	v_fma_f32 v5, v13, v155, -v5
	v_fmac_f32_e32 v9, v16, v146
	v_fma_f32 v10, v17, v146, -v8
	v_add_u32_e32 v8, 0x2000, v177
	s_waitcnt vmcnt(15)
	v_mul_f32_e32 v6, v15, v152
	v_mul_f32_e32 v7, v14, v152
	ds_write2_b64 v8, v[4:5], v[9:10] offset0:47 offset1:173
	s_waitcnt vmcnt(14)
	v_mul_f32_e32 v4, v19, v145
	v_mul_f32_e32 v5, v18, v145
	v_fmac_f32_e32 v6, v14, v151
	v_fma_f32 v7, v15, v151, -v7
	v_fmac_f32_e32 v4, v18, v144
	v_fma_f32 v5, v19, v144, -v5
	v_add_u32_e32 v9, 0x400, v177
	ds_write2_b64 v9, v[6:7], v[4:5] offset0:124 offset1:250
	s_waitcnt vmcnt(9)
	v_mul_f32_e32 v4, v21, v149
	v_mul_f32_e32 v5, v20, v149
	s_waitcnt vmcnt(8)
	v_mul_f32_e32 v11, v25, v141
	v_mul_f32_e32 v10, v24, v141
	v_fmac_f32_e32 v4, v20, v148
	v_fma_f32 v5, v21, v148, -v5
	v_fmac_f32_e32 v11, v24, v140
	v_fma_f32 v12, v25, v140, -v10
	v_add_u32_e32 v10, 0x2800, v177
	v_mul_f32_e32 v6, v23, v143
	v_mul_f32_e32 v7, v22, v143
	ds_write2_b64 v10, v[4:5], v[11:12] offset0:43 offset1:169
	s_waitcnt vmcnt(6)
	v_mul_f32_e32 v4, v27, v139
	v_mul_f32_e32 v5, v26, v139
	v_fmac_f32_e32 v6, v22, v142
	v_fma_f32 v7, v23, v142, -v7
	v_fmac_f32_e32 v4, v26, v138
	v_fma_f32 v5, v27, v138, -v5
	v_add_u32_e32 v11, 0xc00, v177
	ds_write2_b64 v11, v[6:7], v[4:5] offset0:120 offset1:246
	v_add_u32_e32 v12, 0x3000, v177
	s_waitcnt vmcnt(4)
	v_mul_f32_e32 v4, v29, v137
	s_waitcnt vmcnt(2)
	v_mul_f32_e32 v6, v31, v135
	v_mul_f32_e32 v7, v30, v135
	v_fmac_f32_e32 v6, v30, v134
	v_fma_f32 v7, v31, v134, -v7
	ds_write_b64 v177, v[6:7] offset:6048
	s_waitcnt vmcnt(0)
	v_mul_f32_e32 v6, v3, v133
	v_mul_f32_e32 v5, v28, v137
	v_fmac_f32_e32 v6, v2, v132
	v_mul_f32_e32 v2, v2, v133
	v_fmac_f32_e32 v4, v28, v136
	v_fma_f32 v5, v29, v136, -v5
	v_fma_f32 v7, v3, v132, -v2
	ds_write2_b64 v12, v[4:5], v[6:7] offset0:39 offset1:165
	s_and_saveexec_b64 s[2:3], s[0:1]
	s_cbranch_execz .LBB0_3
; %bb.2:
	v_mov_b32_e32 v2, s19
	v_add_co_u32_e32 v0, vcc, s18, v0
	v_addc_co_u32_e32 v1, vcc, v1, v2, vcc
	v_add_co_u32_e32 v4, vcc, 0x1000, v175
	v_addc_co_u32_e32 v5, vcc, 0, v176, vcc
	global_load_dwordx2 v[2:3], v[0:1], off
	v_mov_b32_e32 v6, s15
	v_add_co_u32_e32 v0, vcc, s14, v0
	v_addc_co_u32_e32 v1, vcc, v1, v6, vcc
	v_add_co_u32_e32 v6, vcc, 0x3000, v175
	global_load_dwordx2 v[4:5], v[4:5], off offset:2960
	v_addc_co_u32_e32 v7, vcc, 0, v176, vcc
	global_load_dwordx2 v[6:7], v[6:7], off offset:2328
	s_waitcnt vmcnt(1)
	v_mul_f32_e32 v13, v3, v5
	global_load_dwordx2 v[0:1], v[0:1], off
	v_mul_f32_e32 v5, v2, v5
	v_fmac_f32_e32 v13, v2, v4
	v_fma_f32 v14, v3, v4, -v5
	ds_write_b64 v177, v[13:14] offset:7056
	s_waitcnt vmcnt(0)
	v_mul_f32_e32 v2, v1, v7
	v_mul_f32_e32 v3, v0, v7
	v_fmac_f32_e32 v2, v0, v6
	v_fma_f32 v3, v1, v6, -v3
	ds_write_b64 v177, v[2:3] offset:14616
.LBB0_3:
	s_or_b64 exec, exec, s[2:3]
	v_add_u32_e32 v0, 0x1600, v177
	s_waitcnt lgkmcnt(0)
	s_barrier
	ds_read2_b64 v[4:7], v177 offset1:126
	ds_read2_b64 v[0:3], v0 offset0:52 offset1:241
	ds_read2_b64 v[24:27], v8 offset0:47 offset1:173
	;; [unrolled: 1-line block ×6, first 2 shown]
	s_load_dwordx2 s[4:5], s[4:5], 0x8
                                        ; implicit-def: $vgpr30
                                        ; implicit-def: $vgpr28
	s_and_saveexec_b64 s[2:3], s[0:1]
	s_cbranch_execz .LBB0_5
; %bb.4:
	ds_read_b64 v[28:29], v177 offset:7056
	ds_read_b64 v[30:31], v177 offset:14616
.LBB0_5:
	s_or_b64 exec, exec, s[2:3]
	s_movk_i32 s2, 0x17a
	v_add_co_u32_e32 v48, vcc, s2, v178
	s_movk_i32 s2, 0x1f8
	s_waitcnt lgkmcnt(0)
	v_sub_f32_e32 v34, v4, v2
	v_sub_f32_e32 v38, v8, v22
	v_add_co_u32_e32 v52, vcc, s2, v178
	s_movk_i32 s2, 0x372
	v_sub_f32_e32 v35, v5, v3
	v_fma_f32 v32, v4, 2.0, -v34
	v_sub_f32_e32 v4, v6, v24
	v_fma_f32 v36, v8, 2.0, -v38
	v_sub_f32_e32 v8, v10, v12
	v_sub_f32_e32 v12, v0, v14
	v_add_co_u32_e32 v123, vcc, 0x7e, v178
	v_add_co_u32_e32 v122, vcc, 0xfc, v178
	;; [unrolled: 1-line block ×3, first 2 shown]
	v_fma_f32 v33, v5, 2.0, -v35
	v_sub_f32_e32 v5, v7, v25
	v_fma_f32 v2, v6, 2.0, -v4
	v_sub_f32_e32 v26, v16, v26
	v_sub_f32_e32 v27, v17, v27
	;; [unrolled: 1-line block ×5, first 2 shown]
	v_fma_f32 v6, v10, 2.0, -v8
	v_fma_f32 v10, v0, 2.0, -v12
	v_lshlrev_b16_e32 v0, 1, v178
	v_lshlrev_b32_e32 v185, 4, v178
	v_fma_f32 v3, v7, 2.0, -v5
	v_fma_f32 v24, v16, 2.0, -v26
	;; [unrolled: 1-line block ×6, first 2 shown]
	v_sub_f32_e32 v9, v11, v13
	v_sub_f32_e32 v13, v1, v15
	;; [unrolled: 1-line block ×4, first 2 shown]
	v_lshlrev_b32_e32 v180, 3, v0
	v_lshlrev_b32_e32 v181, 4, v123
	;; [unrolled: 1-line block ×6, first 2 shown]
	v_fma_f32 v7, v11, 2.0, -v9
	v_fma_f32 v11, v1, 2.0, -v13
	s_barrier
	ds_write_b128 v180, v[32:35]
	ds_write_b128 v181, v[2:5]
	;; [unrolled: 1-line block ×5, first 2 shown]
	ds_write_b128 v185, v[6:9] offset:10080
	ds_write_b128 v185, v[10:13] offset:12096
	s_and_saveexec_b64 s[2:3], s[0:1]
	s_cbranch_execz .LBB0_7
; %bb.6:
	v_fma_f32 v75, v29, 2.0, -v77
	v_fma_f32 v74, v28, 2.0, -v76
	ds_write_b128 v179, v[74:77]
.LBB0_7:
	s_or_b64 exec, exec, s[2:3]
	v_and_b32_e32 v40, 1, v178
	v_lshlrev_b32_e32 v0, 4, v40
	s_waitcnt lgkmcnt(0)
	s_barrier
	global_load_dwordx4 v[0:3], v0, s[4:5]
	ds_read2_b64 v[10:13], v177 offset1:126
	v_add_u32_e32 v5, 0xc00, v177
	v_add_u32_e32 v8, 0x2400, v177
	;; [unrolled: 1-line block ×6, first 2 shown]
	ds_read_b64 v[38:39], v177 offset:14112
	ds_read2_b64 v[14:17], v5 offset0:120 offset1:246
	ds_read2_b64 v[18:21], v8 offset0:108 offset1:234
	;; [unrolled: 1-line block ×6, first 2 shown]
	s_waitcnt vmcnt(0) lgkmcnt(0)
	s_barrier
	s_movk_i32 s2, 0xab
	v_mov_b32_e32 v70, s5
                                        ; implicit-def: $vgpr116
                                        ; implicit-def: $vgpr112
                                        ; implicit-def: $vgpr114
                                        ; implicit-def: $vgpr118
                                        ; implicit-def: $vgpr120
	v_mul_f32_e32 v41, v17, v1
	v_mul_f32_e32 v42, v16, v1
	;; [unrolled: 1-line block ×6, first 2 shown]
	v_fma_f32 v16, v16, v0, -v41
	v_fmac_f32_e32 v42, v17, v0
	v_fma_f32 v17, v18, v2, -v43
	v_fmac_f32_e32 v44, v19, v2
	v_mul_f32_e32 v45, v23, v1
	v_mul_f32_e32 v47, v21, v3
	v_mul_f32_e32 v58, v32, v3
	v_fmac_f32_e32 v46, v23, v0
	v_fmac_f32_e32 v49, v21, v2
	v_add_f32_e32 v19, v16, v17
	v_add_f32_e32 v21, v42, v44
	v_mul_f32_e32 v50, v25, v1
	v_mul_f32_e32 v51, v24, v1
	;; [unrolled: 1-line block ×5, first 2 shown]
	v_fma_f32 v41, v22, v0, -v45
	v_fma_f32 v23, v20, v2, -v47
	v_fmac_f32_e32 v58, v33, v2
	v_add_f32_e32 v18, v10, v16
	v_add_f32_e32 v20, v11, v42
	;; [unrolled: 1-line block ×3, first 2 shown]
	v_fma_f32 v10, -0.5, v19, v10
	v_fma_f32 v11, -0.5, v21, v11
	v_mul_f32_e32 v54, v30, v3
	v_mul_f32_e32 v55, v35, v1
	v_fma_f32 v43, v24, v0, -v50
	v_fmac_f32_e32 v51, v25, v0
	v_fma_f32 v45, v30, v2, -v53
	v_fmac_f32_e32 v56, v35, v0
	v_fma_f32 v35, v32, v2, -v57
	v_sub_f32_e32 v24, v42, v44
	v_sub_f32_e32 v25, v16, v17
	v_add_f32_e32 v22, v12, v41
	v_add_f32_e32 v30, v41, v23
	v_add_f32_e32 v32, v13, v46
	v_add_f32_e32 v16, v18, v17
	v_add_f32_e32 v17, v20, v44
	v_fmac_f32_e32 v13, -0.5, v33
	v_mov_b32_e32 v20, v10
	v_mov_b32_e32 v21, v11
	v_add_f32_e32 v18, v22, v23
	v_fma_f32 v12, -0.5, v30, v12
	v_fmac_f32_e32 v10, 0xbf5db3d7, v24
	v_fmac_f32_e32 v11, 0x3f5db3d7, v25
	;; [unrolled: 1-line block ×4, first 2 shown]
	v_sub_f32_e32 v24, v41, v23
	v_mov_b32_e32 v23, v13
	v_add_f32_e32 v25, v43, v45
	v_fmac_f32_e32 v54, v31, v2
	v_sub_f32_e32 v31, v46, v49
	v_mov_b32_e32 v22, v12
	v_fmac_f32_e32 v23, 0xbf5db3d7, v24
	v_fmac_f32_e32 v13, 0x3f5db3d7, v24
	v_add_f32_e32 v24, v26, v43
	v_fma_f32 v26, -0.5, v25, v26
	v_fmac_f32_e32 v12, 0xbf5db3d7, v31
	v_fmac_f32_e32 v22, 0x3f5db3d7, v31
	v_sub_f32_e32 v25, v51, v54
	v_mov_b32_e32 v30, v26
	v_add_f32_e32 v31, v51, v54
	v_fma_f32 v47, v34, v0, -v55
	v_fmac_f32_e32 v30, 0x3f5db3d7, v25
	v_fmac_f32_e32 v26, 0xbf5db3d7, v25
	v_add_f32_e32 v25, v27, v51
	v_fma_f32 v27, -0.5, v31, v27
	v_add_f32_e32 v19, v32, v49
	v_sub_f32_e32 v32, v43, v45
	v_mov_b32_e32 v31, v27
	v_add_f32_e32 v33, v47, v35
	v_mul_f32_e32 v59, v37, v1
	v_fmac_f32_e32 v31, 0xbf5db3d7, v32
	v_fmac_f32_e32 v27, 0x3f5db3d7, v32
	v_add_f32_e32 v32, v28, v47
	v_fma_f32 v28, -0.5, v33, v28
	v_mul_f32_e32 v60, v36, v1
	v_mul_f32_e32 v61, v39, v3
	v_fma_f32 v50, v36, v0, -v59
	v_sub_f32_e32 v33, v56, v58
	v_mov_b32_e32 v34, v28
	v_add_f32_e32 v36, v56, v58
	v_fma_f32 v53, v38, v2, -v61
	v_fmac_f32_e32 v34, 0x3f5db3d7, v33
	v_fmac_f32_e32 v28, 0xbf5db3d7, v33
	v_add_f32_e32 v33, v29, v56
	v_fmac_f32_e32 v29, -0.5, v36
	v_mul_f32_e32 v62, v38, v3
	v_fmac_f32_e32 v60, v37, v0
	v_add_f32_e32 v32, v32, v35
	v_sub_f32_e32 v36, v47, v35
	v_mov_b32_e32 v35, v29
	v_add_f32_e32 v37, v50, v53
	v_fmac_f32_e32 v62, v39, v2
	v_fmac_f32_e32 v35, 0xbf5db3d7, v36
	;; [unrolled: 1-line block ×3, first 2 shown]
	v_add_f32_e32 v36, v14, v50
	v_fma_f32 v14, -0.5, v37, v14
	v_sub_f32_e32 v37, v60, v62
	v_mov_b32_e32 v38, v14
	v_add_f32_e32 v39, v60, v62
	v_fmac_f32_e32 v38, 0x3f5db3d7, v37
	v_fmac_f32_e32 v14, 0xbf5db3d7, v37
	v_add_f32_e32 v37, v15, v60
	v_fmac_f32_e32 v15, -0.5, v39
	v_sub_f32_e32 v41, v50, v53
	v_mov_b32_e32 v39, v15
	v_fmac_f32_e32 v39, 0xbf5db3d7, v41
	v_fmac_f32_e32 v15, 0x3f5db3d7, v41
	v_lshrrev_b32_e32 v41, 1, v178
	v_mul_u32_u24_e32 v41, 6, v41
	v_or_b32_e32 v41, v41, v40
	v_lshlrev_b32_e32 v186, 3, v41
	ds_write2_b64 v186, v[16:17], v[20:21] offset1:2
	ds_write_b64 v186, v[10:11] offset:32
	v_lshrrev_b32_e32 v10, 1, v123
	v_mul_u32_u24_e32 v10, 6, v10
	v_or_b32_e32 v10, v10, v40
	v_lshlrev_b32_e32 v187, 3, v10
	v_lshrrev_b32_e32 v10, 1, v122
	v_mul_u32_u24_e32 v10, 6, v10
	v_or_b32_e32 v10, v10, v40
	v_lshlrev_b32_e32 v188, 3, v10
	;; [unrolled: 4-line block ×4, first 2 shown]
	v_mul_lo_u16_sdwa v10, v178, s2 dst_sel:DWORD dst_unused:UNUSED_PAD src0_sel:BYTE_0 src1_sel:DWORD
	v_lshrrev_b16_e32 v51, 10, v10
	v_mul_lo_u16_sdwa v11, v123, s2 dst_sel:DWORD dst_unused:UNUSED_PAD src0_sel:BYTE_0 src1_sel:DWORD
	v_mul_lo_u16_e32 v10, 6, v51
	v_lshrrev_b16_e32 v66, 10, v11
	v_sub_u16_e32 v10, v178, v10
	v_mul_lo_u16_e32 v11, 6, v66
	v_and_b32_e32 v65, 0xff, v10
	v_sub_u16_e32 v11, v123, v11
	v_add_f32_e32 v24, v24, v45
	v_add_f32_e32 v25, v25, v54
	;; [unrolled: 1-line block ×5, first 2 shown]
	v_lshlrev_b32_e32 v10, 4, v65
	v_and_b32_e32 v67, 0xff, v11
	s_mov_b32 s2, 0xaaab
	ds_write2_b64 v187, v[18:19], v[22:23] offset1:2
	ds_write_b64 v187, v[12:13] offset:32
	ds_write2_b64 v188, v[24:25], v[30:31] offset1:2
	ds_write_b64 v188, v[26:27] offset:32
	;; [unrolled: 2-line block ×4, first 2 shown]
	s_waitcnt lgkmcnt(0)
	s_barrier
	v_lshlrev_b32_e32 v11, 4, v67
	global_load_dwordx4 v[20:23], v10, s[4:5] offset:32
	global_load_dwordx4 v[16:19], v11, s[4:5] offset:32
	v_mul_u32_u24_sdwa v10, v122, s2 dst_sel:DWORD dst_unused:UNUSED_PAD src0_sel:WORD_0 src1_sel:DWORD
	v_lshrrev_b32_e32 v68, 18, v10
	v_mul_lo_u16_e32 v10, 6, v68
	v_sub_u16_e32 v69, v122, v10
	v_lshlrev_b16_e32 v10, 4, v69
	v_add_co_u32_e32 v10, vcc, s4, v10
	v_addc_co_u32_e32 v11, vcc, 0, v70, vcc
	global_load_dwordx4 v[24:27], v[10:11], off offset:32
	v_mul_u32_u24_sdwa v10, v48, s2 dst_sel:DWORD dst_unused:UNUSED_PAD src0_sel:WORD_0 src1_sel:DWORD
	v_lshrrev_b32_e32 v71, 18, v10
	v_mul_lo_u16_e32 v10, 6, v71
	v_sub_u16_e32 v72, v48, v10
	v_lshlrev_b16_e32 v10, 4, v72
	v_add_co_u32_e32 v10, vcc, s4, v10
	v_addc_co_u32_e32 v11, vcc, 0, v70, vcc
	global_load_dwordx4 v[28:31], v[10:11], off offset:32
	v_mul_u32_u24_sdwa v10, v52, s2 dst_sel:DWORD dst_unused:UNUSED_PAD src0_sel:WORD_0 src1_sel:DWORD
	v_lshrrev_b32_e32 v73, 18, v10
	v_mul_lo_u16_e32 v10, 6, v73
	v_sub_u16_e32 v74, v52, v10
	v_lshlrev_b16_e32 v10, 4, v74
	v_add_co_u32_e32 v10, vcc, s4, v10
	v_addc_co_u32_e32 v11, vcc, 0, v70, vcc
	global_load_dwordx4 v[32:35], v[10:11], off offset:32
	ds_read2_b64 v[10:13], v177 offset1:126
	ds_read2_b64 v[36:39], v5 offset0:120 offset1:246
	ds_read2_b64 v[40:43], v8 offset0:108 offset1:234
	;; [unrolled: 1-line block ×6, first 2 shown]
	ds_read_b64 v[14:15], v177 offset:14112
	v_mul_u32_u24_e32 v51, 18, v51
	v_add_lshl_u32 v191, v51, v65, 3
	s_waitcnt vmcnt(0) lgkmcnt(0)
	s_barrier
	s_mov_b32 s2, 0xe38f
	v_mul_f32_e32 v49, v39, v21
	v_fma_f32 v49, v38, v20, -v49
	v_mul_f32_e32 v50, v38, v21
	v_mul_f32_e32 v38, v41, v23
	v_fmac_f32_e32 v50, v39, v20
	v_fma_f32 v39, v40, v22, -v38
	v_mul_f32_e32 v38, v45, v17
	v_fma_f32 v75, v44, v16, -v38
	v_mul_f32_e32 v44, v44, v17
	v_mul_f32_e32 v38, v43, v19
	v_fmac_f32_e32 v44, v45, v16
	v_fma_f32 v45, v42, v18, -v38
	;; [unrolled: 6-line block ×3, first 2 shown]
	v_mul_f32_e32 v47, v57, v27
	v_fmac_f32_e32 v47, v58, v26
	v_mul_f32_e32 v40, v40, v23
	v_mul_f32_e32 v38, v62, v29
	v_fma_f32 v58, v61, v28, -v38
	v_mul_f32_e32 v61, v61, v29
	v_mul_f32_e32 v38, v60, v31
	v_fmac_f32_e32 v61, v62, v28
	v_fma_f32 v62, v59, v30, -v38
	v_fmac_f32_e32 v40, v41, v22
	v_mul_f32_e32 v78, v42, v19
	v_add_f32_e32 v41, v75, v45
	v_fmac_f32_e32 v78, v43, v18
	v_mul_f32_e32 v38, v64, v33
	v_mul_f32_e32 v83, v14, v35
	v_fma_f32 v82, v63, v32, -v38
	v_mul_f32_e32 v63, v63, v33
	v_mul_f32_e32 v38, v15, v35
	v_fmac_f32_e32 v83, v15, v34
	v_add_f32_e32 v15, v49, v39
	v_fmac_f32_e32 v63, v64, v32
	v_fma_f32 v64, v14, v34, -v38
	v_add_f32_e32 v14, v10, v49
	v_fma_f32 v10, -0.5, v15, v10
	v_sub_f32_e32 v15, v50, v40
	v_mov_b32_e32 v38, v10
	v_fmac_f32_e32 v38, 0x3f5db3d7, v15
	v_fmac_f32_e32 v10, 0xbf5db3d7, v15
	v_add_f32_e32 v15, v11, v50
	v_add_f32_e32 v15, v15, v40
	;; [unrolled: 1-line block ×3, first 2 shown]
	v_fma_f32 v11, -0.5, v40, v11
	v_add_f32_e32 v14, v14, v39
	v_sub_f32_e32 v40, v49, v39
	v_mov_b32_e32 v39, v11
	v_fmac_f32_e32 v39, 0xbf5db3d7, v40
	v_fmac_f32_e32 v11, 0x3f5db3d7, v40
	v_add_f32_e32 v40, v12, v75
	v_fma_f32 v12, -0.5, v41, v12
	v_sub_f32_e32 v41, v44, v78
	v_mov_b32_e32 v42, v12
	v_add_f32_e32 v40, v40, v45
	v_fmac_f32_e32 v42, 0x3f5db3d7, v41
	v_fmac_f32_e32 v12, 0xbf5db3d7, v41
	v_add_f32_e32 v41, v13, v44
	v_add_f32_e32 v43, v44, v78
	v_sub_f32_e32 v44, v75, v45
	v_add_f32_e32 v45, v79, v81
	v_fma_f32 v46, -0.5, v45, v53
	v_sub_f32_e32 v45, v80, v47
	v_mov_b32_e32 v49, v46
	v_fmac_f32_e32 v49, 0x3f5db3d7, v45
	v_fmac_f32_e32 v46, 0xbf5db3d7, v45
	v_add_f32_e32 v45, v54, v80
	v_fmac_f32_e32 v13, -0.5, v43
	v_add_f32_e32 v45, v45, v47
	v_add_f32_e32 v47, v80, v47
	v_mov_b32_e32 v43, v13
	v_fma_f32 v47, -0.5, v47, v54
	v_mul_f32_e32 v59, v59, v31
	v_fmac_f32_e32 v43, 0xbf5db3d7, v44
	v_fmac_f32_e32 v13, 0x3f5db3d7, v44
	v_add_f32_e32 v44, v53, v79
	v_sub_f32_e32 v53, v79, v81
	v_mov_b32_e32 v50, v47
	v_add_f32_e32 v54, v58, v62
	v_fmac_f32_e32 v59, v60, v30
	v_fmac_f32_e32 v50, 0xbf5db3d7, v53
	;; [unrolled: 1-line block ×3, first 2 shown]
	v_add_f32_e32 v53, v55, v58
	v_fma_f32 v55, -0.5, v54, v55
	ds_write2_b64 v191, v[14:15], v[38:39] offset1:6
	ds_write_b64 v191, v[10:11] offset:96
	v_mul_u32_u24_e32 v10, 18, v66
	v_sub_f32_e32 v54, v61, v59
	v_mov_b32_e32 v57, v55
	v_add_lshl_u32 v192, v10, v67, 3
	v_mad_legacy_u16 v10, v68, 18, v69
	v_fmac_f32_e32 v57, 0x3f5db3d7, v54
	v_fmac_f32_e32 v55, 0xbf5db3d7, v54
	v_add_f32_e32 v54, v56, v61
	v_lshlrev_b32_e32 v193, 3, v10
	v_mad_legacy_u16 v10, v71, 18, v72
	v_add_f32_e32 v54, v54, v59
	v_add_f32_e32 v59, v61, v59
	v_lshlrev_b32_e32 v194, 3, v10
	v_mad_legacy_u16 v10, v73, 18, v74
	v_fmac_f32_e32 v56, -0.5, v59
	v_lshlrev_b32_e32 v195, 3, v10
	v_mov_b32_e32 v10, 57
	v_sub_f32_e32 v59, v58, v62
	v_mov_b32_e32 v58, v56
	v_add_f32_e32 v60, v82, v64
	v_mul_lo_u16_sdwa v11, v178, v10 dst_sel:DWORD dst_unused:UNUSED_PAD src0_sel:BYTE_0 src1_sel:DWORD
	v_mul_lo_u16_sdwa v10, v123, v10 dst_sel:DWORD dst_unused:UNUSED_PAD src0_sel:BYTE_0 src1_sel:DWORD
	v_fmac_f32_e32 v58, 0xbf5db3d7, v59
	v_fmac_f32_e32 v56, 0x3f5db3d7, v59
	v_add_f32_e32 v59, v36, v82
	v_fma_f32 v36, -0.5, v60, v36
	v_lshrrev_b16_e32 v72, 10, v11
	v_lshrrev_b16_e32 v74, 10, v10
	v_add_f32_e32 v53, v53, v62
	v_sub_f32_e32 v60, v63, v83
	v_mov_b32_e32 v61, v36
	v_add_f32_e32 v62, v63, v83
	v_mul_lo_u16_e32 v11, 18, v72
	v_mul_lo_u16_e32 v10, 18, v74
	v_fmac_f32_e32 v61, 0x3f5db3d7, v60
	v_fmac_f32_e32 v36, 0xbf5db3d7, v60
	v_add_f32_e32 v60, v37, v63
	v_fmac_f32_e32 v37, -0.5, v62
	v_sub_u16_e32 v11, v178, v11
	v_sub_u16_e32 v10, v123, v10
	v_sub_f32_e32 v63, v82, v64
	v_mov_b32_e32 v62, v37
	v_and_b32_e32 v73, 0xff, v11
	v_and_b32_e32 v75, 0xff, v10
	v_add_f32_e32 v41, v41, v78
	v_add_f32_e32 v44, v44, v81
	;; [unrolled: 1-line block ×4, first 2 shown]
	v_fmac_f32_e32 v62, 0xbf5db3d7, v63
	v_fmac_f32_e32 v37, 0x3f5db3d7, v63
	v_lshlrev_b32_e32 v11, 4, v73
	v_lshlrev_b32_e32 v10, 4, v75
	ds_write2_b64 v192, v[40:41], v[42:43] offset1:6
	ds_write_b64 v192, v[12:13] offset:96
	ds_write2_b64 v193, v[44:45], v[49:50] offset1:6
	ds_write_b64 v193, v[46:47] offset:96
	;; [unrolled: 2-line block ×4, first 2 shown]
	s_waitcnt lgkmcnt(0)
	s_barrier
	global_load_dwordx4 v[40:43], v11, s[4:5] offset:128
	global_load_dwordx4 v[36:39], v10, s[4:5] offset:128
	v_mul_u32_u24_sdwa v10, v122, s2 dst_sel:DWORD dst_unused:UNUSED_PAD src0_sel:WORD_0 src1_sel:DWORD
	v_lshrrev_b32_e32 v82, 20, v10
	v_mul_lo_u16_e32 v10, 18, v82
	v_sub_u16_e32 v83, v122, v10
	v_lshlrev_b16_e32 v10, 4, v83
	v_add_co_u32_e32 v10, vcc, s4, v10
	v_addc_co_u32_e32 v11, vcc, 0, v70, vcc
	global_load_dwordx4 v[44:47], v[10:11], off offset:128
	v_mul_u32_u24_sdwa v10, v48, s2 dst_sel:DWORD dst_unused:UNUSED_PAD src0_sel:WORD_0 src1_sel:DWORD
	v_lshrrev_b32_e32 v84, 20, v10
	v_mul_lo_u16_e32 v10, 18, v84
	v_sub_u16_e32 v85, v48, v10
	v_lshlrev_b16_e32 v10, 4, v85
	v_add_co_u32_e32 v10, vcc, s4, v10
	v_addc_co_u32_e32 v11, vcc, 0, v70, vcc
	global_load_dwordx4 v[48:51], v[10:11], off offset:128
	;; [unrolled: 8-line block ×3, first 2 shown]
	ds_read2_b64 v[10:13], v177 offset1:126
	ds_read2_b64 v[78:81], v5 offset0:120 offset1:246
	ds_read2_b64 v[56:59], v8 offset0:108 offset1:234
	;; [unrolled: 1-line block ×6, first 2 shown]
	ds_read_b64 v[8:9], v177 offset:14112
	v_mul_u32_u24_e32 v72, 54, v72
	v_add_lshl_u32 v196, v72, v73, 3
	s_waitcnt vmcnt(0) lgkmcnt(0)
	s_barrier
	v_cmp_gt_u16_e64 s[2:3], 18, v178
	v_mul_f32_e32 v14, v81, v41
	v_fma_f32 v14, v80, v40, -v14
	v_mul_f32_e32 v15, v80, v41
	v_mul_f32_e32 v80, v57, v43
	v_fma_f32 v80, v56, v42, -v80
	v_mul_f32_e32 v56, v56, v43
	v_fmac_f32_e32 v56, v57, v42
	v_mul_f32_e32 v57, v61, v37
	v_fma_f32 v57, v60, v36, -v57
	v_mul_f32_e32 v60, v60, v37
	v_fmac_f32_e32 v60, v61, v36
	v_mul_f32_e32 v61, v59, v39
	v_fma_f32 v61, v58, v38, -v61
	v_mul_f32_e32 v58, v58, v39
	v_fmac_f32_e32 v58, v59, v38
	v_mul_f32_e32 v59, v63, v45
	v_fmac_f32_e32 v15, v81, v40
	v_fma_f32 v81, v62, v44, -v59
	v_mul_f32_e32 v59, v62, v45
	v_mul_f32_e32 v62, v69, v47
	v_fmac_f32_e32 v59, v63, v44
	v_fma_f32 v62, v68, v46, -v62
	v_mul_f32_e32 v63, v68, v47
	;; [unrolled: 4-line block ×4, first 2 shown]
	v_mul_f32_e32 v4, v7, v53
	v_mul_f32_e32 v89, v6, v53
	v_add_f32_e32 v5, v14, v80
	v_fmac_f32_e32 v70, v71, v50
	v_fma_f32 v71, v6, v52, -v4
	v_fmac_f32_e32 v89, v7, v52
	v_mul_f32_e32 v4, v9, v55
	v_fma_f32 v6, -0.5, v5, v10
	v_add_f32_e32 v7, v15, v56
	v_fma_f32 v90, v8, v54, -v4
	v_mul_f32_e32 v91, v8, v55
	v_sub_f32_e32 v5, v15, v56
	v_mov_b32_e32 v8, v6
	v_fma_f32 v7, -0.5, v7, v11
	v_fmac_f32_e32 v91, v9, v54
	v_add_f32_e32 v4, v10, v14
	v_fmac_f32_e32 v8, 0x3f5db3d7, v5
	v_fmac_f32_e32 v6, 0xbf5db3d7, v5
	v_add_f32_e32 v5, v11, v15
	v_sub_f32_e32 v10, v14, v80
	v_mov_b32_e32 v9, v7
	v_add_f32_e32 v11, v57, v61
	v_fmac_f32_e32 v9, 0xbf5db3d7, v10
	v_fmac_f32_e32 v7, 0x3f5db3d7, v10
	v_add_f32_e32 v10, v12, v57
	v_fma_f32 v12, -0.5, v11, v12
	v_sub_f32_e32 v11, v60, v58
	v_mov_b32_e32 v14, v12
	v_add_f32_e32 v5, v5, v56
	v_fmac_f32_e32 v14, 0x3f5db3d7, v11
	v_fmac_f32_e32 v12, 0xbf5db3d7, v11
	v_add_f32_e32 v11, v13, v60
	v_sub_f32_e32 v56, v57, v61
	v_add_f32_e32 v57, v81, v62
	v_add_f32_e32 v11, v11, v58
	v_add_f32_e32 v15, v60, v58
	v_fma_f32 v58, -0.5, v57, v64
	v_fmac_f32_e32 v13, -0.5, v15
	v_sub_f32_e32 v57, v59, v63
	v_mov_b32_e32 v60, v58
	v_mov_b32_e32 v15, v13
	v_fmac_f32_e32 v60, 0x3f5db3d7, v57
	v_fmac_f32_e32 v58, 0xbf5db3d7, v57
	v_add_f32_e32 v57, v65, v59
	v_add_f32_e32 v59, v59, v63
	v_fmac_f32_e32 v15, 0xbf5db3d7, v56
	v_fmac_f32_e32 v13, 0x3f5db3d7, v56
	v_add_f32_e32 v56, v64, v81
	v_fma_f32 v59, -0.5, v59, v65
	v_add_f32_e32 v10, v10, v61
	v_add_f32_e32 v56, v56, v62
	;; [unrolled: 1-line block ×3, first 2 shown]
	v_sub_f32_e32 v62, v81, v62
	v_mov_b32_e32 v61, v59
	v_add_f32_e32 v63, v68, v88
	v_fmac_f32_e32 v61, 0xbf5db3d7, v62
	v_fmac_f32_e32 v59, 0x3f5db3d7, v62
	v_add_f32_e32 v62, v66, v68
	v_fma_f32 v66, -0.5, v63, v66
	v_sub_f32_e32 v63, v69, v70
	v_mov_b32_e32 v64, v66
	v_add_f32_e32 v65, v69, v70
	v_fmac_f32_e32 v64, 0x3f5db3d7, v63
	v_fmac_f32_e32 v66, 0xbf5db3d7, v63
	v_add_f32_e32 v63, v67, v69
	v_fmac_f32_e32 v67, -0.5, v65
	v_add_f32_e32 v4, v4, v80
	v_sub_f32_e32 v68, v68, v88
	v_mov_b32_e32 v65, v67
	v_add_f32_e32 v69, v71, v90
	v_fmac_f32_e32 v65, 0xbf5db3d7, v68
	v_fmac_f32_e32 v67, 0x3f5db3d7, v68
	v_add_f32_e32 v68, v78, v71
	v_fma_f32 v78, -0.5, v69, v78
	ds_write2_b64 v196, v[4:5], v[8:9] offset1:18
	ds_write_b64 v196, v[6:7] offset:288
	v_mul_u32_u24_e32 v4, 54, v74
	v_add_f32_e32 v63, v63, v70
	v_sub_f32_e32 v69, v89, v91
	v_mov_b32_e32 v70, v78
	v_add_f32_e32 v80, v89, v91
	v_add_lshl_u32 v197, v4, v75, 3
	v_mad_legacy_u16 v4, v82, 54, v83
	v_fmac_f32_e32 v70, 0x3f5db3d7, v69
	v_fmac_f32_e32 v78, 0xbf5db3d7, v69
	v_add_f32_e32 v69, v79, v89
	v_fmac_f32_e32 v79, -0.5, v80
	v_lshlrev_b32_e32 v198, 3, v4
	v_mad_legacy_u16 v4, v84, 54, v85
	v_sub_f32_e32 v80, v71, v90
	v_mov_b32_e32 v71, v79
	v_lshlrev_b32_e32 v199, 3, v4
	v_mad_legacy_u16 v4, v86, 54, v87
	v_add_f32_e32 v62, v62, v88
	v_add_f32_e32 v68, v68, v90
	;; [unrolled: 1-line block ×3, first 2 shown]
	v_fmac_f32_e32 v71, 0xbf5db3d7, v80
	v_lshlrev_b32_e32 v200, 3, v4
	v_add_u32_e32 v4, 0x800, v177
	v_fmac_f32_e32 v79, 0x3f5db3d7, v80
	ds_write2_b64 v197, v[10:11], v[14:15] offset1:18
	ds_write_b64 v197, v[12:13] offset:288
	ds_write2_b64 v198, v[56:57], v[60:61] offset1:18
	ds_write_b64 v198, v[58:59] offset:288
	;; [unrolled: 2-line block ×4, first 2 shown]
	s_waitcnt lgkmcnt(0)
	s_barrier
	ds_read2_b64 v[88:91], v4 offset0:14 offset1:140
	v_add_u32_e32 v4, 0x1000, v177
	ds_read2_b64 v[92:95], v4 offset0:28 offset1:154
	v_add_u32_e32 v4, 0x1800, v177
	;; [unrolled: 2-line block ×5, first 2 shown]
	ds_read2_b64 v[84:87], v177 offset1:126
	ds_read2_b64 v[108:111], v4 offset0:84 offset1:210
	s_and_saveexec_b64 s[14:15], s[2:3]
	s_cbranch_execz .LBB0_9
; %bb.8:
	ds_read_b64 v[78:79], v177 offset:2016
	ds_read_b64 v[76:77], v177 offset:4176
	;; [unrolled: 1-line block ×7, first 2 shown]
.LBB0_9:
	s_or_b64 exec, exec, s[14:15]
	v_mov_b32_e32 v56, 19
	v_mul_lo_u16_sdwa v4, v178, v56 dst_sel:DWORD dst_unused:UNUSED_PAD src0_sel:BYTE_0 src1_sel:DWORD
	v_lshrrev_b16_e32 v124, 10, v4
	v_lshrrev_b16_e32 v4, 1, v122
	v_mul_u32_u24_e32 v4, 0x97b5, v4
	v_mul_lo_u16_e32 v14, 54, v124
	v_lshrrev_b32_e32 v4, 20, v4
	v_mul_lo_u16_e32 v4, 54, v4
	v_sub_u16_e32 v14, v178, v14
	v_mul_lo_u16_sdwa v56, v123, v56 dst_sel:DWORD dst_unused:UNUSED_PAD src0_sel:BYTE_0 src1_sel:DWORD
	v_sub_u16_e32 v125, v122, v4
	v_and_b32_e32 v126, 0xff, v14
	v_lshrrev_b16_e32 v127, 10, v56
	v_mul_lo_u16_e32 v4, 48, v125
	v_mad_u64_u32 v[14:15], s[14:15], v126, 48, s[4:5]
	v_mul_lo_u16_e32 v56, 54, v127
	v_mov_b32_e32 v5, s5
	v_add_co_u32_e32 v12, vcc, s4, v4
	v_sub_u16_e32 v56, v123, v56
	v_addc_co_u32_e32 v13, vcc, 0, v5, vcc
	v_and_b32_e32 v128, 0xff, v56
	global_load_dwordx4 v[8:11], v[12:13], off offset:432
	global_load_dwordx4 v[4:7], v[12:13], off offset:416
	v_mad_u64_u32 v[56:57], s[14:15], v128, 48, s[4:5]
	global_load_dwordx4 v[72:75], v[14:15], off offset:432
	global_load_dwordx4 v[80:83], v[14:15], off offset:416
	;; [unrolled: 1-line block ×5, first 2 shown]
	s_nop 0
	global_load_dwordx4 v[56:59], v[56:57], off offset:448
	s_nop 0
	global_load_dwordx4 v[12:15], v[12:13], off offset:448
	s_mov_b32 s14, 0x3f5ff5aa
	s_mov_b32 s15, 0x3f3bfb3b
	;; [unrolled: 1-line block ×4, first 2 shown]
	s_waitcnt vmcnt(0) lgkmcnt(0)
	s_barrier
	v_mul_f32_e32 v162, v117, v9
	v_mul_f32_e32 v130, v76, v5
	;; [unrolled: 1-line block ×5, first 2 shown]
	v_fmac_f32_e32 v130, v77, v4
	v_fma_f32 v77, v120, v6, -v131
	v_mul_f32_e32 v120, v89, v81
	v_mul_f32_e32 v131, v92, v83
	;; [unrolled: 1-line block ×4, first 2 shown]
	v_fma_f32 v76, v76, v4, -v129
	v_fmac_f32_e32 v161, v121, v6
	v_mul_f32_e32 v121, v88, v81
	v_mul_f32_e32 v129, v93, v83
	v_mul_f32_e32 v166, v100, v75
	v_mul_f32_e32 v172, v90, v65
	v_fma_f32 v88, v88, v80, -v120
	v_fmac_f32_e32 v131, v93, v82
	v_fma_f32 v93, v100, v74, -v165
	v_fma_f32 v100, v90, v64, -v171
	;; [unrolled: 1-line block ×3, first 2 shown]
	v_mul_f32_e32 v116, v116, v9
	v_mul_f32_e32 v90, v119, v11
	v_mul_f32_e32 v163, v97, v73
	v_mul_f32_e32 v164, v96, v73
	v_mul_f32_e32 v167, v105, v69
	v_mul_f32_e32 v169, v109, v71
	v_fmac_f32_e32 v116, v117, v8
	v_fma_f32 v117, v118, v10, -v90
	v_mul_f32_e32 v118, v118, v11
	v_mul_f32_e32 v90, v113, v13
	;; [unrolled: 1-line block ×5, first 2 shown]
	v_fmac_f32_e32 v121, v89, v80
	v_fma_f32 v89, v92, v82, -v129
	v_fma_f32 v92, v96, v72, -v163
	v_fmac_f32_e32 v164, v97, v72
	v_fma_f32 v96, v104, v68, -v167
	v_fma_f32 v97, v108, v70, -v169
	v_fmac_f32_e32 v118, v119, v10
	v_fma_f32 v119, v112, v12, -v90
	v_mul_f32_e32 v112, v112, v13
	v_mul_f32_e32 v90, v115, v15
	;; [unrolled: 1-line block ×6, first 2 shown]
	v_fmac_f32_e32 v168, v105, v68
	v_fmac_f32_e32 v170, v109, v70
	;; [unrolled: 1-line block ×4, first 2 shown]
	v_fma_f32 v113, v114, v14, -v90
	v_add_f32_e32 v90, v88, v97
	v_add_f32_e32 v95, v89, v96
	v_mul_f32_e32 v202, v98, v61
	v_mul_f32_e32 v203, v103, v63
	;; [unrolled: 1-line block ×3, first 2 shown]
	v_fmac_f32_e32 v166, v101, v74
	v_fmac_f32_e32 v172, v91, v64
	v_fma_f32 v104, v98, v60, -v201
	v_fmac_f32_e32 v204, v103, v62
	v_fma_f32 v103, v106, v56, -v205
	v_add_f32_e32 v91, v121, v170
	v_sub_f32_e32 v88, v88, v97
	v_add_f32_e32 v97, v131, v168
	v_add_f32_e32 v98, v92, v93
	;; [unrolled: 1-line block ×3, first 2 shown]
	v_fmac_f32_e32 v202, v99, v60
	v_fmac_f32_e32 v206, v107, v56
	v_add_f32_e32 v99, v164, v166
	v_add_f32_e32 v107, v97, v91
	v_sub_f32_e32 v108, v95, v90
	v_sub_f32_e32 v90, v90, v98
	;; [unrolled: 1-line block ×3, first 2 shown]
	v_add_f32_e32 v98, v98, v106
	v_mul_f32_e32 v207, v111, v59
	v_mul_f32_e32 v114, v114, v15
	v_sub_f32_e32 v89, v89, v96
	v_sub_f32_e32 v92, v93, v92
	;; [unrolled: 1-line block ×5, first 2 shown]
	v_add_f32_e32 v99, v99, v107
	v_add_f32_e32 v84, v84, v98
	v_mul_f32_e32 v208, v110, v59
	v_fma_f32 v101, v94, v66, -v173
	v_fma_f32 v105, v110, v58, -v207
	v_fmac_f32_e32 v114, v115, v14
	v_sub_f32_e32 v94, v121, v170
	v_sub_f32_e32 v96, v131, v168
	;; [unrolled: 1-line block ×3, first 2 shown]
	v_add_f32_e32 v110, v92, v89
	v_sub_f32_e32 v115, v92, v89
	v_sub_f32_e32 v89, v89, v88
	v_add_f32_e32 v85, v85, v99
	v_mov_b32_e32 v129, v84
	v_fmac_f32_e32 v208, v111, v58
	v_add_f32_e32 v111, v93, v96
	v_sub_f32_e32 v121, v93, v96
	v_sub_f32_e32 v92, v88, v92
	;; [unrolled: 1-line block ×3, first 2 shown]
	v_add_f32_e32 v88, v110, v88
	v_mul_f32_e32 v90, 0x3f4a47b2, v90
	v_mul_f32_e32 v91, 0x3f4a47b2, v91
	;; [unrolled: 1-line block ×6, first 2 shown]
	v_fmac_f32_e32 v129, 0xbf955555, v98
	v_mov_b32_e32 v98, v85
	v_sub_f32_e32 v93, v94, v93
	v_add_f32_e32 v94, v111, v94
	v_mul_f32_e32 v111, 0xbf08b237, v121
	v_mul_f32_e32 v121, 0x3f5ff5aa, v96
	v_fmac_f32_e32 v98, 0xbf955555, v99
	v_fma_f32 v99, v108, s15, -v106
	v_fma_f32 v106, v109, s15, -v107
	;; [unrolled: 1-line block ×3, first 2 shown]
	v_fmac_f32_e32 v90, 0x3d64c772, v95
	v_fma_f32 v95, v109, s16, -v91
	v_fmac_f32_e32 v91, 0x3d64c772, v97
	v_fma_f32 v97, v89, s14, -v110
	v_fma_f32 v108, v92, s18, -v115
	v_fmac_f32_e32 v110, 0x3eae86e6, v92
	v_fma_f32 v96, v96, s14, -v111
	v_fmac_f32_e32 v111, 0x3eae86e6, v93
	v_fma_f32 v109, v93, s18, -v121
	v_add_f32_e32 v121, v91, v98
	v_add_f32_e32 v106, v106, v98
	;; [unrolled: 1-line block ×3, first 2 shown]
	v_fmac_f32_e32 v97, 0x3ee1c552, v88
	v_fmac_f32_e32 v108, 0x3ee1c552, v88
	v_fma_f32 v102, v102, v62, -v203
	v_add_f32_e32 v115, v90, v129
	v_add_f32_e32 v99, v99, v129
	;; [unrolled: 1-line block ×3, first 2 shown]
	v_fmac_f32_e32 v110, 0x3ee1c552, v88
	v_fmac_f32_e32 v111, 0x3ee1c552, v94
	v_fmac_f32_e32 v96, 0x3ee1c552, v94
	v_fmac_f32_e32 v109, 0x3ee1c552, v94
	v_sub_f32_e32 v91, v98, v108
	v_add_f32_e32 v93, v97, v106
	v_sub_f32_e32 v95, v106, v97
	v_add_f32_e32 v97, v108, v98
	v_add_f32_e32 v106, v100, v105
	v_add_f32_e32 v108, v101, v103
	v_add_f32_e32 v88, v111, v115
	v_sub_f32_e32 v89, v121, v110
	v_add_f32_e32 v90, v109, v107
	v_sub_f32_e32 v92, v99, v96
	v_add_f32_e32 v94, v96, v99
	v_sub_f32_e32 v96, v107, v109
	v_sub_f32_e32 v98, v115, v111
	v_add_f32_e32 v99, v110, v121
	v_add_f32_e32 v107, v172, v208
	;; [unrolled: 1-line block ×7, first 2 shown]
	v_sub_f32_e32 v129, v108, v106
	v_sub_f32_e32 v106, v106, v110
	v_sub_f32_e32 v108, v110, v108
	v_add_f32_e32 v110, v110, v115
	v_sub_f32_e32 v101, v101, v103
	v_sub_f32_e32 v103, v174, v206
	;; [unrolled: 1-line block ×7, first 2 shown]
	v_add_f32_e32 v111, v111, v121
	v_add_f32_e32 v86, v86, v110
	v_sub_f32_e32 v100, v100, v105
	v_sub_f32_e32 v105, v172, v208
	v_add_f32_e32 v163, v104, v103
	v_sub_f32_e32 v165, v104, v103
	v_add_f32_e32 v87, v87, v111
	v_mov_b32_e32 v166, v86
	v_add_f32_e32 v162, v102, v101
	v_sub_f32_e32 v164, v102, v101
	v_sub_f32_e32 v104, v105, v104
	;; [unrolled: 1-line block ×4, first 2 shown]
	v_add_f32_e32 v105, v163, v105
	v_mul_f32_e32 v106, 0x3f4a47b2, v106
	v_mul_f32_e32 v107, 0x3f4a47b2, v107
	;; [unrolled: 1-line block ×5, first 2 shown]
	v_fmac_f32_e32 v166, 0xbf955555, v110
	v_mov_b32_e32 v110, v87
	v_sub_f32_e32 v102, v100, v102
	v_add_f32_e32 v100, v162, v100
	v_mul_f32_e32 v162, 0xbf08b237, v164
	v_mul_f32_e32 v164, 0x3f5ff5aa, v101
	;; [unrolled: 1-line block ×3, first 2 shown]
	v_fmac_f32_e32 v110, 0xbf955555, v111
	v_fma_f32 v111, v129, s15, -v115
	v_fma_f32 v115, v131, s15, -v121
	;; [unrolled: 1-line block ×3, first 2 shown]
	v_fmac_f32_e32 v106, 0x3d64c772, v108
	v_fma_f32 v108, v131, s16, -v107
	v_fmac_f32_e32 v107, 0x3d64c772, v109
	v_fma_f32 v129, v103, s14, -v163
	v_fma_f32 v109, v101, s14, -v162
	v_fmac_f32_e32 v162, 0x3eae86e6, v102
	v_fma_f32 v131, v102, s18, -v164
	v_fma_f32 v164, v104, s18, -v165
	v_add_f32_e32 v165, v106, v166
	v_add_f32_e32 v167, v107, v110
	;; [unrolled: 1-line block ×5, first 2 shown]
	v_fmac_f32_e32 v129, 0x3ee1c552, v105
	v_add_f32_e32 v115, v76, v113
	v_add_f32_e32 v121, v130, v114
	v_sub_f32_e32 v76, v76, v113
	v_sub_f32_e32 v113, v130, v114
	v_add_f32_e32 v114, v77, v119
	v_fmac_f32_e32 v163, 0x3eae86e6, v104
	v_fmac_f32_e32 v162, 0x3ee1c552, v100
	;; [unrolled: 1-line block ×3, first 2 shown]
	v_sub_f32_e32 v104, v106, v129
	v_add_f32_e32 v106, v129, v106
	v_add_f32_e32 v129, v161, v112
	v_sub_f32_e32 v77, v77, v119
	v_add_f32_e32 v119, v120, v117
	v_add_f32_e32 v130, v116, v118
	v_sub_f32_e32 v117, v117, v120
	v_sub_f32_e32 v116, v118, v116
	v_add_f32_e32 v118, v114, v115
	v_add_f32_e32 v110, v108, v110
	v_fmac_f32_e32 v109, 0x3ee1c552, v100
	v_fmac_f32_e32 v131, 0x3ee1c552, v100
	v_sub_f32_e32 v101, v167, v162
	v_add_f32_e32 v102, v164, v111
	v_sub_f32_e32 v108, v111, v164
	v_add_f32_e32 v111, v162, v167
	v_add_f32_e32 v120, v129, v121
	;; [unrolled: 1-line block ×4, first 2 shown]
	v_fmac_f32_e32 v163, 0x3ee1c552, v105
	v_sub_f32_e32 v103, v110, v131
	v_add_f32_e32 v105, v109, v107
	v_sub_f32_e32 v107, v107, v109
	v_add_f32_e32 v109, v131, v110
	v_sub_f32_e32 v112, v161, v112
	v_sub_f32_e32 v131, v114, v115
	;; [unrolled: 1-line block ×7, first 2 shown]
	v_add_f32_e32 v119, v130, v120
	v_add_f32_e32 v120, v162, v76
	;; [unrolled: 1-line block ×4, first 2 shown]
	v_sub_f32_e32 v110, v165, v163
	v_sub_f32_e32 v161, v129, v121
	;; [unrolled: 1-line block ×5, first 2 shown]
	v_add_f32_e32 v77, v79, v119
	v_mul_f32_e32 v130, 0xbf08b237, v164
	v_mov_b32_e32 v164, v76
	v_add_f32_e32 v163, v116, v112
	v_sub_f32_e32 v116, v113, v116
	v_sub_f32_e32 v112, v112, v113
	v_mul_f32_e32 v78, 0x3f4a47b2, v115
	v_mul_f32_e32 v79, 0x3f4a47b2, v121
	;; [unrolled: 1-line block ×4, first 2 shown]
	v_fmac_f32_e32 v164, 0xbf955555, v118
	v_mov_b32_e32 v118, v77
	v_add_f32_e32 v113, v163, v113
	v_mul_f32_e32 v163, 0x3f5ff5aa, v112
	v_fmac_f32_e32 v118, 0xbf955555, v119
	v_fma_f32 v119, v161, s15, -v121
	v_fma_f32 v121, v131, s16, -v78
	v_fmac_f32_e32 v78, 0x3d64c772, v114
	v_fma_f32 v112, v112, s14, -v169
	v_fmac_f32_e32 v169, 0x3eae86e6, v116
	v_add_f32_e32 v78, v78, v164
	v_fmac_f32_e32 v169, 0x3ee1c552, v113
	v_add_f32_e32 v171, v169, v78
	v_sub_f32_e32 v169, v78, v169
	v_mul_u32_u24_e32 v78, 0x17a, v124
	v_add_lshl_u32 v202, v78, v126, 3
	v_mul_f32_e32 v115, 0x3d64c772, v114
	v_mul_f32_e32 v162, 0x3f5ff5aa, v166
	v_add_u32_e32 v78, 0x400, v202
	v_fma_f32 v115, v131, s15, -v115
	v_fma_f32 v114, v161, s16, -v79
	v_fmac_f32_e32 v79, 0x3d64c772, v129
	v_fma_f32 v129, v166, s14, -v130
	v_fmac_f32_e32 v130, 0x3eae86e6, v117
	v_fma_f32 v117, v117, s18, -v162
	v_fma_f32 v116, v116, s18, -v163
	ds_write2_b64 v202, v[84:85], v[88:89] offset1:54
	ds_write2_b64 v202, v[90:91], v[92:93] offset0:108 offset1:162
	ds_write2_b64 v78, v[94:95], v[96:97] offset0:88 offset1:142
	ds_write_b64 v202, v[98:99] offset:2592
	v_mul_u32_u24_e32 v78, 0x17a, v127
	v_add_f32_e32 v79, v79, v118
	v_add_f32_e32 v115, v115, v164
	;; [unrolled: 1-line block ×5, first 2 shown]
	v_fmac_f32_e32 v130, 0x3ee1c552, v120
	v_fmac_f32_e32 v129, 0x3ee1c552, v120
	;; [unrolled: 1-line block ×5, first 2 shown]
	v_add_lshl_u32 v203, v78, v128, 3
	v_sub_f32_e32 v172, v79, v130
	v_add_f32_e32 v161, v116, v121
	v_sub_f32_e32 v162, v114, v117
	v_sub_f32_e32 v163, v115, v112
	v_add_f32_e32 v164, v129, v119
	v_add_f32_e32 v167, v112, v115
	v_sub_f32_e32 v168, v119, v129
	v_sub_f32_e32 v165, v121, v116
	v_add_f32_e32 v166, v117, v114
	v_add_f32_e32 v170, v130, v79
	v_add_u32_e32 v78, 0x400, v203
	v_lshlrev_b32_e32 v201, 3, v125
	ds_write2_b64 v203, v[86:87], v[100:101] offset1:54
	ds_write2_b64 v203, v[102:103], v[104:105] offset0:108 offset1:162
	ds_write2_b64 v78, v[106:107], v[108:109] offset0:88 offset1:142
	ds_write_b64 v203, v[110:111] offset:2592
	s_and_saveexec_b64 s[14:15], s[2:3]
	s_cbranch_execz .LBB0_11
; %bb.10:
	v_add_u32_e32 v78, 0x2c00, v201
	ds_write2_b64 v78, v[76:77], v[171:172] offset0:104 offset1:158
	v_add_u32_e32 v76, 0x3000, v201
	ds_write2_b64 v76, v[161:162], v[163:164] offset0:84 offset1:138
	ds_write2_b64 v76, v[167:168], v[165:166] offset0:192 offset1:246
	ds_write_b64 v201, v[169:170] offset:14688
.LBB0_11:
	s_or_b64 exec, exec, s[14:15]
	v_lshlrev_b32_e32 v76, 5, v178
	s_waitcnt lgkmcnt(0)
	s_barrier
	global_load_dwordx4 v[92:95], v76, s[4:5] offset:3008
	s_nop 0
	global_load_dwordx4 v[76:79], v76, s[4:5] offset:3024
	v_lshlrev_b32_e32 v84, 5, v123
	v_lshlrev_b32_e32 v88, 5, v122
	global_load_dwordx4 v[96:99], v84, s[4:5] offset:3008
	s_nop 0
	global_load_dwordx4 v[84:87], v84, s[4:5] offset:3024
	s_nop 0
	;; [unrolled: 2-line block ×3, first 2 shown]
	global_load_dwordx4 v[88:91], v88, s[4:5] offset:3024
	v_add_u32_e32 v109, 0x400, v177
	v_add_u32_e32 v120, 0x1400, v177
	ds_read_b64 v[104:105], v177 offset:14112
	ds_read2_b64 v[112:115], v177 offset1:126
	v_add_u32_e32 v110, 0x1c00, v177
	v_add_u32_e32 v106, 0x2c00, v177
	;; [unrolled: 1-line block ×4, first 2 shown]
	ds_read2_b64 v[116:119], v109 offset0:124 offset1:250
	ds_read2_b64 v[120:123], v120 offset0:116 offset1:242
	;; [unrolled: 1-line block ×6, first 2 shown]
	v_mov_b32_e32 v111, s17
	v_addc_co_u32_e64 v111, vcc, 0, v111, s[6:7]
	s_movk_i32 s4, 0x3000
	s_waitcnt vmcnt(5) lgkmcnt(5)
	v_mul_f32_e32 v173, v119, v93
	s_waitcnt lgkmcnt(4)
	v_mul_f32_e32 v212, v121, v95
	s_waitcnt vmcnt(4) lgkmcnt(3)
	v_mul_f32_e32 v214, v127, v77
	v_mul_f32_e32 v215, v126, v77
	s_waitcnt vmcnt(1) lgkmcnt(1)
	v_mul_f32_e32 v227, v206, v101
	s_waitcnt vmcnt(0)
	v_mul_f32_e32 v232, v105, v91
	v_mul_f32_e32 v233, v104, v91
	v_fma_f32 v173, v118, v92, -v173
	v_fma_f32 v212, v120, v94, -v212
	;; [unrolled: 1-line block ×3, first 2 shown]
	v_mul_f32_e32 v174, v118, v93
	v_mul_f32_e32 v217, v128, v79
	;; [unrolled: 1-line block ×3, first 2 shown]
	v_fmac_f32_e32 v227, v207, v100
	v_fma_f32 v207, v104, v90, -v232
	v_fmac_f32_e32 v233, v105, v90
	v_add_f32_e32 v104, v112, v173
	v_add_f32_e32 v105, v212, v126
	v_mul_f32_e32 v213, v120, v95
	v_mul_f32_e32 v216, v129, v79
	v_fmac_f32_e32 v174, v119, v92
	v_fmac_f32_e32 v217, v129, v78
	v_add_f32_e32 v118, v104, v212
	v_fma_f32 v104, -0.5, v105, v112
	v_mul_f32_e32 v218, v205, v97
	v_mul_f32_e32 v220, v123, v99
	;; [unrolled: 1-line block ×3, first 2 shown]
	v_fmac_f32_e32 v213, v121, v94
	v_fmac_f32_e32 v215, v127, v76
	v_fma_f32 v119, v128, v78, -v216
	v_sub_f32_e32 v121, v174, v217
	v_add_f32_e32 v105, v118, v126
	v_mov_b32_e32 v118, v104
	v_mul_f32_e32 v219, v204, v97
	v_fma_f32 v129, v204, v96, -v218
	v_fma_f32 v204, v122, v98, -v220
	v_fmac_f32_e32 v221, v123, v98
	v_sub_f32_e32 v123, v213, v215
	v_add_f32_e32 v120, v105, v119
	v_fmac_f32_e32 v118, 0x3f737871, v121
	v_sub_f32_e32 v105, v173, v212
	v_sub_f32_e32 v122, v119, v126
	v_fmac_f32_e32 v104, 0xbf737871, v121
	v_fmac_f32_e32 v118, 0x3f167918, v123
	v_add_f32_e32 v105, v105, v122
	v_fmac_f32_e32 v104, 0xbf167918, v123
	v_fmac_f32_e32 v118, 0x3e9e377a, v105
	;; [unrolled: 1-line block ×3, first 2 shown]
	v_add_f32_e32 v105, v173, v119
	v_fma_f32 v112, -0.5, v105, v112
	v_mul_f32_e32 v228, v125, v103
	v_mov_b32_e32 v122, v112
	v_mul_f32_e32 v229, v124, v103
	v_fma_f32 v214, v124, v102, -v228
	v_fmac_f32_e32 v122, 0xbf737871, v123
	v_sub_f32_e32 v105, v212, v173
	v_sub_f32_e32 v124, v126, v119
	v_fmac_f32_e32 v112, 0x3f737871, v123
	v_fmac_f32_e32 v122, 0x3f167918, v121
	v_add_f32_e32 v105, v105, v124
	v_fmac_f32_e32 v112, 0xbf167918, v121
	v_fmac_f32_e32 v122, 0x3e9e377a, v105
	;; [unrolled: 1-line block ×3, first 2 shown]
	v_add_f32_e32 v105, v113, v174
	v_add_f32_e32 v105, v105, v213
	;; [unrolled: 1-line block ×5, first 2 shown]
	v_fma_f32 v105, -0.5, v105, v113
	v_sub_f32_e32 v124, v173, v119
	v_mov_b32_e32 v119, v105
	v_fmac_f32_e32 v229, v125, v102
	v_fmac_f32_e32 v119, 0xbf737871, v124
	v_sub_f32_e32 v125, v212, v126
	v_sub_f32_e32 v123, v174, v213
	;; [unrolled: 1-line block ×3, first 2 shown]
	v_fmac_f32_e32 v105, 0x3f737871, v124
	v_fmac_f32_e32 v119, 0xbf167918, v125
	v_add_f32_e32 v123, v123, v126
	v_fmac_f32_e32 v105, 0x3f167918, v125
	v_fmac_f32_e32 v119, 0x3e9e377a, v123
	;; [unrolled: 1-line block ×3, first 2 shown]
	v_add_f32_e32 v123, v174, v217
	v_fma_f32 v113, -0.5, v123, v113
	s_waitcnt lgkmcnt(0)
	v_mul_f32_e32 v222, v209, v85
	v_mov_b32_e32 v123, v113
	v_fmac_f32_e32 v219, v205, v96
	v_fma_f32 v205, v208, v84, -v222
	v_fmac_f32_e32 v123, 0x3f737871, v125
	v_sub_f32_e32 v126, v213, v174
	v_sub_f32_e32 v127, v215, v217
	v_fmac_f32_e32 v113, 0xbf737871, v125
	v_mul_f32_e32 v225, v130, v87
	v_fmac_f32_e32 v123, 0xbf167918, v124
	v_add_f32_e32 v126, v126, v127
	v_fmac_f32_e32 v113, 0x3f167918, v124
	v_add_f32_e32 v125, v204, v205
	v_mul_f32_e32 v223, v208, v85
	v_mul_f32_e32 v224, v131, v87
	v_fmac_f32_e32 v225, v131, v86
	v_fmac_f32_e32 v123, 0x3e9e377a, v126
	;; [unrolled: 1-line block ×3, first 2 shown]
	v_fma_f32 v126, -0.5, v125, v114
	v_fmac_f32_e32 v223, v209, v84
	v_fma_f32 v208, v130, v86, -v224
	v_sub_f32_e32 v125, v219, v225
	v_mov_b32_e32 v128, v126
	v_fmac_f32_e32 v128, 0x3f737871, v125
	v_sub_f32_e32 v127, v221, v223
	v_sub_f32_e32 v130, v129, v204
	;; [unrolled: 1-line block ×3, first 2 shown]
	v_fmac_f32_e32 v126, 0xbf737871, v125
	v_fmac_f32_e32 v128, 0x3f167918, v127
	v_add_f32_e32 v130, v130, v131
	v_fmac_f32_e32 v126, 0xbf167918, v127
	v_fmac_f32_e32 v128, 0x3e9e377a, v130
	;; [unrolled: 1-line block ×3, first 2 shown]
	v_add_f32_e32 v130, v129, v208
	v_add_f32_e32 v124, v114, v129
	v_fma_f32 v114, -0.5, v130, v114
	v_mov_b32_e32 v130, v114
	v_fmac_f32_e32 v130, 0xbf737871, v127
	v_fmac_f32_e32 v114, 0x3f737871, v127
	v_add_f32_e32 v127, v221, v223
	v_sub_f32_e32 v131, v204, v129
	v_sub_f32_e32 v173, v205, v208
	v_fma_f32 v127, -0.5, v127, v115
	v_fmac_f32_e32 v130, 0x3f167918, v125
	v_add_f32_e32 v131, v131, v173
	v_fmac_f32_e32 v114, 0xbf167918, v125
	v_sub_f32_e32 v173, v129, v208
	v_mov_b32_e32 v129, v127
	v_add_f32_e32 v124, v124, v204
	v_fmac_f32_e32 v130, 0x3e9e377a, v131
	v_fmac_f32_e32 v114, 0x3e9e377a, v131
	;; [unrolled: 1-line block ×3, first 2 shown]
	v_sub_f32_e32 v174, v204, v205
	v_sub_f32_e32 v131, v219, v221
	;; [unrolled: 1-line block ×3, first 2 shown]
	v_fmac_f32_e32 v127, 0x3f737871, v173
	v_fmac_f32_e32 v129, 0xbf167918, v174
	v_add_f32_e32 v131, v131, v204
	v_fmac_f32_e32 v127, 0x3f167918, v174
	v_fmac_f32_e32 v129, 0x3e9e377a, v131
	;; [unrolled: 1-line block ×3, first 2 shown]
	v_add_f32_e32 v131, v219, v225
	v_add_f32_e32 v125, v115, v219
	v_fmac_f32_e32 v115, -0.5, v131
	v_mov_b32_e32 v131, v115
	v_fma_f32 v209, v206, v100, -v226
	v_fmac_f32_e32 v131, 0x3f737871, v174
	v_fmac_f32_e32 v115, 0xbf737871, v174
	v_mul_f32_e32 v230, v211, v89
	v_fmac_f32_e32 v131, 0xbf167918, v173
	v_fmac_f32_e32 v115, 0x3f167918, v173
	v_add_f32_e32 v173, v116, v209
	v_mul_f32_e32 v231, v210, v89
	v_fma_f32 v210, v210, v88, -v230
	v_add_f32_e32 v124, v124, v205
	v_sub_f32_e32 v204, v221, v219
	v_sub_f32_e32 v205, v223, v225
	v_add_f32_e32 v173, v173, v214
	v_add_f32_e32 v204, v204, v205
	;; [unrolled: 1-line block ×3, first 2 shown]
	v_fmac_f32_e32 v131, 0x3e9e377a, v204
	v_fmac_f32_e32 v115, 0x3e9e377a, v204
	v_add_f32_e32 v204, v173, v207
	v_add_f32_e32 v173, v214, v210
	v_fma_f32 v173, -0.5, v173, v116
	v_fmac_f32_e32 v231, v211, v88
	v_sub_f32_e32 v174, v227, v233
	v_mov_b32_e32 v206, v173
	v_add_f32_e32 v124, v124, v208
	v_fmac_f32_e32 v206, 0x3f737871, v174
	v_sub_f32_e32 v205, v229, v231
	v_sub_f32_e32 v208, v209, v214
	;; [unrolled: 1-line block ×3, first 2 shown]
	v_fmac_f32_e32 v173, 0xbf737871, v174
	v_fmac_f32_e32 v206, 0x3f167918, v205
	v_add_f32_e32 v208, v208, v211
	v_fmac_f32_e32 v173, 0xbf167918, v205
	v_fmac_f32_e32 v206, 0x3e9e377a, v208
	;; [unrolled: 1-line block ×3, first 2 shown]
	v_add_f32_e32 v208, v209, v207
	v_fma_f32 v116, -0.5, v208, v116
	v_mov_b32_e32 v208, v116
	v_fmac_f32_e32 v208, 0xbf737871, v205
	v_fmac_f32_e32 v116, 0x3f737871, v205
	;; [unrolled: 1-line block ×4, first 2 shown]
	v_add_f32_e32 v174, v117, v227
	v_add_f32_e32 v174, v174, v229
	;; [unrolled: 1-line block ×3, first 2 shown]
	v_sub_f32_e32 v211, v214, v209
	v_sub_f32_e32 v212, v210, v207
	v_add_f32_e32 v205, v174, v233
	v_add_f32_e32 v174, v229, v231
	;; [unrolled: 1-line block ×3, first 2 shown]
	v_fma_f32 v174, -0.5, v174, v117
	v_fmac_f32_e32 v208, 0x3e9e377a, v211
	v_fmac_f32_e32 v116, 0x3e9e377a, v211
	v_sub_f32_e32 v211, v209, v207
	v_mov_b32_e32 v207, v174
	v_fmac_f32_e32 v207, 0xbf737871, v211
	v_sub_f32_e32 v210, v214, v210
	v_sub_f32_e32 v209, v227, v229
	;; [unrolled: 1-line block ×3, first 2 shown]
	v_fmac_f32_e32 v174, 0x3f737871, v211
	v_fmac_f32_e32 v207, 0xbf167918, v210
	v_add_f32_e32 v209, v209, v212
	v_fmac_f32_e32 v174, 0x3f167918, v210
	v_fmac_f32_e32 v207, 0x3e9e377a, v209
	;; [unrolled: 1-line block ×3, first 2 shown]
	v_add_f32_e32 v209, v227, v233
	v_fmac_f32_e32 v117, -0.5, v209
	v_mov_b32_e32 v209, v117
	v_add_f32_e32 v125, v125, v221
	v_fmac_f32_e32 v209, 0x3f737871, v210
	v_sub_f32_e32 v212, v229, v227
	v_sub_f32_e32 v213, v231, v233
	v_fmac_f32_e32 v117, 0xbf737871, v210
	v_add_f32_e32 v125, v125, v223
	v_fmac_f32_e32 v209, 0xbf167918, v211
	v_add_f32_e32 v212, v212, v213
	;; [unrolled: 2-line block ×3, first 2 shown]
	v_fmac_f32_e32 v209, 0x3e9e377a, v212
	v_fmac_f32_e32 v117, 0x3e9e377a, v212
	ds_write_b64 v177, v[118:119] offset:3024
	ds_write_b64 v177, v[122:123] offset:6048
	;; [unrolled: 1-line block ×4, first 2 shown]
	ds_write2_b64 v177, v[120:121], v[124:125] offset1:126
	ds_write_b64 v177, v[130:131] offset:7056
	ds_write_b64 v177, v[114:115] offset:10080
	ds_write_b64 v177, v[126:127] offset:13104
	ds_write_b64 v177, v[204:205] offset:2016
	ds_write2_b64 v108, v[128:129], v[206:207] offset0:120 offset1:246
	ds_write_b64 v177, v[208:209] offset:8064
	ds_write_b64 v177, v[116:117] offset:11088
	;; [unrolled: 1-line block ×3, first 2 shown]
	v_add_co_u32_e32 v104, vcc, s4, v175
	v_addc_co_u32_e32 v105, vcc, 0, v111, vcc
	s_waitcnt lgkmcnt(0)
	s_barrier
	global_load_dwordx2 v[116:117], v[104:105], off offset:2832
	s_movk_i32 s4, 0x5000
	v_add_co_u32_e32 v118, vcc, s4, v175
	v_addc_co_u32_e32 v119, vcc, 0, v111, vcc
	global_load_dwordx2 v[122:123], v[118:119], off offset:2200
	s_movk_i32 s4, 0x3b10
	v_add_co_u32_e32 v104, vcc, s4, v175
	v_addc_co_u32_e32 v105, vcc, 0, v111, vcc
	global_load_dwordx2 v[124:125], v[104:105], off offset:1008
	global_load_dwordx2 v[126:127], v[118:119], off offset:3208
	;; [unrolled: 1-line block ×3, first 2 shown]
	s_movk_i32 s4, 0x6000
	v_add_co_u32_e32 v112, vcc, s4, v175
	v_addc_co_u32_e32 v113, vcc, 0, v111, vcc
	global_load_dwordx2 v[130:131], v[112:113], off offset:120
	global_load_dwordx2 v[204:205], v[104:105], off offset:3024
	;; [unrolled: 1-line block ×5, first 2 shown]
	s_movk_i32 s4, 0x4000
	v_add_co_u32_e32 v114, vcc, s4, v175
	v_addc_co_u32_e32 v115, vcc, 0, v111, vcc
	global_load_dwordx2 v[212:213], v[114:115], off offset:3776
	global_load_dwordx2 v[214:215], v[112:113], off offset:3144
	;; [unrolled: 1-line block ×3, first 2 shown]
	v_add_co_u32_e32 v118, vcc, 0x7000, v175
	v_addc_co_u32_e32 v119, vcc, 0, v111, vcc
	global_load_dwordx2 v[218:219], v[118:119], off offset:56
	ds_read2_b64 v[112:115], v177 offset1:126
	s_waitcnt vmcnt(13) lgkmcnt(0)
	v_mul_f32_e32 v111, v113, v117
	v_fma_f32 v111, v112, v116, -v111
	v_mul_f32_e32 v112, v112, v117
	v_fmac_f32_e32 v112, v113, v116
	ds_write_b64 v177, v[111:112]
	v_add_u32_e32 v111, 0x1600, v177
	ds_read2_b64 v[118:121], v111 offset0:52 offset1:241
	v_add_u32_e32 v116, 0x2000, v177
	s_waitcnt vmcnt(11)
	v_mul_f32_e32 v223, v114, v125
	s_waitcnt lgkmcnt(0)
	v_mul_f32_e32 v112, v121, v123
	v_mul_f32_e32 v221, v120, v123
	v_fma_f32 v220, v120, v122, -v112
	v_fmac_f32_e32 v221, v121, v122
	ds_read2_b64 v[120:123], v116 offset0:47 offset1:173
	v_mul_f32_e32 v112, v115, v125
	v_fma_f32 v222, v114, v124, -v112
	v_fmac_f32_e32 v223, v115, v124
	ds_read2_b64 v[112:115], v109 offset0:124 offset1:250
	s_waitcnt vmcnt(10) lgkmcnt(1)
	v_mul_f32_e32 v117, v121, v127
	v_mul_f32_e32 v125, v120, v127
	v_fma_f32 v124, v120, v126, -v117
	v_fmac_f32_e32 v125, v121, v126
	ds_write2_b64 v110, v[220:221], v[124:125] offset0:49 offset1:175
	s_waitcnt vmcnt(9) lgkmcnt(1)
	v_mul_f32_e32 v110, v113, v129
	v_fma_f32 v120, v112, v128, -v110
	v_mul_f32_e32 v121, v112, v129
	s_waitcnt vmcnt(8)
	v_mul_f32_e32 v110, v123, v131
	v_fmac_f32_e32 v121, v113, v128
	v_fma_f32 v124, v122, v130, -v110
	v_mul_f32_e32 v125, v122, v131
	v_add_u32_e32 v110, 0x2800, v177
	ds_write2_b64 v177, v[222:223], v[120:121] offset0:126 offset1:252
	v_fmac_f32_e32 v125, v123, v130
	ds_read2_b64 v[120:123], v110 offset0:43 offset1:169
	s_waitcnt vmcnt(7)
	v_mul_f32_e32 v112, v115, v205
	v_mul_f32_e32 v127, v114, v205
	v_fma_f32 v126, v114, v204, -v112
	v_fmac_f32_e32 v127, v115, v204
	ds_read2_b64 v[112:115], v108 offset0:120 offset1:246
	s_waitcnt vmcnt(6) lgkmcnt(1)
	v_mul_f32_e32 v117, v121, v207
	v_mul_f32_e32 v129, v120, v207
	v_fma_f32 v128, v120, v206, -v117
	v_fmac_f32_e32 v129, v121, v206
	ds_write2_b64 v107, v[124:125], v[128:129] offset0:45 offset1:171
	s_waitcnt vmcnt(5) lgkmcnt(1)
	v_mul_f32_e32 v107, v113, v209
	v_mul_f32_e32 v121, v112, v209
	v_fma_f32 v120, v112, v208, -v107
	v_fmac_f32_e32 v121, v113, v208
	v_add_u32_e32 v107, 0x800, v177
	ds_write2_b64 v107, v[126:127], v[120:121] offset0:122 offset1:248
	s_waitcnt vmcnt(4)
	v_mul_f32_e32 v107, v123, v211
	v_mul_f32_e32 v113, v122, v211
	v_add_u32_e32 v117, 0x3000, v177
	v_fma_f32 v112, v122, v210, -v107
	v_fmac_f32_e32 v113, v123, v210
	ds_read2_b64 v[120:123], v117 offset0:39 offset1:165
	s_waitcnt vmcnt(3)
	v_mul_f32_e32 v107, v115, v213
	v_mul_f32_e32 v125, v114, v213
	v_fma_f32 v124, v114, v212, -v107
	v_fmac_f32_e32 v125, v115, v212
	s_waitcnt vmcnt(2) lgkmcnt(0)
	v_mul_f32_e32 v107, v121, v215
	v_mul_f32_e32 v115, v120, v215
	v_fma_f32 v114, v120, v214, -v107
	v_fmac_f32_e32 v115, v121, v214
	ds_write2_b64 v106, v[112:113], v[114:115] offset0:41 offset1:167
	s_waitcnt vmcnt(1)
	v_mul_f32_e32 v106, v119, v217
	v_mul_f32_e32 v107, v118, v217
	v_fma_f32 v106, v118, v216, -v106
	v_fmac_f32_e32 v107, v119, v216
	v_add_u32_e32 v112, 0x1000, v177
	ds_write2_b64 v112, v[124:125], v[106:107] offset0:118 offset1:244
	s_waitcnt vmcnt(0)
	v_mul_f32_e32 v106, v123, v219
	v_mul_f32_e32 v107, v122, v219
	v_fma_f32 v106, v122, v218, -v106
	v_fmac_f32_e32 v107, v123, v218
	ds_write_b64 v177, v[106:107] offset:13608
	s_and_saveexec_b64 s[4:5], s[0:1]
	s_cbranch_execz .LBB0_13
; %bb.12:
	v_add_co_u32_e32 v106, vcc, 0x1000, v104
	v_addc_co_u32_e32 v107, vcc, 0, v105, vcc
	v_add_co_u32_e32 v104, vcc, 0x3000, v104
	global_load_dwordx2 v[106:107], v[106:107], off offset:2960
	v_addc_co_u32_e32 v105, vcc, 0, v105, vcc
	global_load_dwordx2 v[104:105], v[104:105], off offset:2328
	ds_read_b64 v[112:113], v177 offset:7056
	ds_read_b64 v[114:115], v177 offset:14616
	s_waitcnt vmcnt(1) lgkmcnt(1)
	v_mul_f32_e32 v118, v113, v107
	v_mul_f32_e32 v119, v112, v107
	v_fma_f32 v118, v112, v106, -v118
	v_fmac_f32_e32 v119, v113, v106
	s_waitcnt vmcnt(0) lgkmcnt(0)
	v_mul_f32_e32 v107, v115, v105
	v_mul_f32_e32 v106, v114, v105
	v_fma_f32 v105, v114, v104, -v107
	v_fmac_f32_e32 v106, v115, v104
	ds_write_b64 v177, v[118:119] offset:7056
	ds_write_b64 v177, v[105:106] offset:14616
.LBB0_13:
	s_or_b64 exec, exec, s[4:5]
	s_waitcnt lgkmcnt(0)
	s_barrier
	ds_read2_b64 v[112:115], v177 offset1:126
	ds_read2_b64 v[104:107], v111 offset0:52 offset1:241
	ds_read2_b64 v[128:131], v116 offset0:47 offset1:173
	;; [unrolled: 1-line block ×6, first 2 shown]
	v_add_u32_e32 v204, 0x2760, v185
	v_add_u32_e32 v185, 0x2f40, v185
	s_and_saveexec_b64 s[4:5], s[0:1]
	s_cbranch_execz .LBB0_15
; %bb.14:
	ds_read_b64 v[173:174], v177 offset:7056
	ds_read_b64 v[171:172], v177 offset:14616
.LBB0_15:
	s_or_b64 exec, exec, s[4:5]
	s_waitcnt lgkmcnt(5)
	v_sub_f32_e32 v207, v112, v106
	v_sub_f32_e32 v208, v113, v107
	s_waitcnt lgkmcnt(4)
	v_sub_f32_e32 v211, v114, v128
	v_sub_f32_e32 v212, v115, v129
	;; [unrolled: 3-line block ×3, first 2 shown]
	v_fma_f32 v205, v112, 2.0, -v207
	v_fma_f32 v206, v113, 2.0, -v208
	;; [unrolled: 1-line block ×4, first 2 shown]
	v_sub_f32_e32 v114, v120, v130
	v_sub_f32_e32 v115, v121, v131
	;; [unrolled: 1-line block ×6, first 2 shown]
	v_fma_f32 v213, v110, 2.0, -v215
	v_fma_f32 v214, v111, 2.0, -v216
	v_sub_f32_e32 v110, v104, v118
	v_sub_f32_e32 v111, v105, v119
	;; [unrolled: 1-line block ×4, first 2 shown]
	v_fma_f32 v112, v120, 2.0, -v114
	v_fma_f32 v113, v121, 2.0, -v115
	v_fma_f32 v122, v122, 2.0, -v124
	v_fma_f32 v123, v123, 2.0, -v125
	v_fma_f32 v126, v108, 2.0, -v128
	v_fma_f32 v127, v109, 2.0, -v129
	v_fma_f32 v108, v104, 2.0, -v110
	v_fma_f32 v109, v105, 2.0, -v111
	s_barrier
	ds_write_b128 v180, v[205:208]
	ds_write_b128 v181, v[209:212]
	;; [unrolled: 1-line block ×7, first 2 shown]
	s_and_saveexec_b64 s[4:5], s[0:1]
	s_cbranch_execz .LBB0_17
; %bb.16:
	v_fma_f32 v105, v174, 2.0, -v107
	v_fma_f32 v104, v173, 2.0, -v106
	ds_write_b128 v179, v[104:107]
.LBB0_17:
	s_or_b64 exec, exec, s[4:5]
	v_add_u32_e32 v179, 0xc00, v177
	s_waitcnt lgkmcnt(0)
	s_barrier
	ds_read2_b64 v[112:115], v179 offset0:120 offset1:246
	v_add_u32_e32 v180, 0x2400, v177
	ds_read2_b64 v[116:119], v180 offset0:108 offset1:234
	v_add_u32_e32 v181, 0x1400, v177
	ds_read2_b64 v[120:123], v181 offset0:116 offset1:242
	s_waitcnt lgkmcnt(2)
	v_mul_f32_e32 v185, v1, v115
	v_fmac_f32_e32 v185, v0, v114
	v_mul_f32_e32 v114, v1, v114
	v_add_u32_e32 v183, 0x2c00, v177
	v_fma_f32 v114, v0, v115, -v114
	s_waitcnt lgkmcnt(1)
	v_mul_f32_e32 v115, v3, v117
	ds_read2_b64 v[128:131], v183 offset0:104 offset1:230
	v_fmac_f32_e32 v115, v2, v116
	v_mul_f32_e32 v116, v3, v116
	v_add_u32_e32 v182, 0x400, v177
	v_add_u32_e32 v184, 0x1c00, v177
	v_fma_f32 v116, v2, v117, -v116
	s_waitcnt lgkmcnt(1)
	v_mul_f32_e32 v117, v1, v121
	ds_read2_b64 v[108:111], v177 offset1:126
	ds_read2_b64 v[124:127], v182 offset0:124 offset1:250
	ds_read2_b64 v[171:174], v184 offset0:112 offset1:238
	ds_read_b64 v[104:105], v177 offset:14112
	v_fmac_f32_e32 v117, v0, v120
	v_mul_f32_e32 v120, v1, v120
	v_fma_f32 v120, v0, v121, -v120
	v_mul_f32_e32 v121, v3, v119
	v_fmac_f32_e32 v121, v2, v118
	v_mul_f32_e32 v118, v3, v118
	v_mul_f32_e32 v204, v1, v123
	v_fma_f32 v118, v2, v119, -v118
	v_fmac_f32_e32 v204, v0, v122
	v_mul_f32_e32 v119, v1, v122
	s_waitcnt lgkmcnt(4)
	v_mul_f32_e32 v122, v3, v129
	v_fma_f32 v119, v0, v123, -v119
	v_fmac_f32_e32 v122, v2, v128
	v_mul_f32_e32 v123, v3, v128
	s_waitcnt lgkmcnt(1)
	v_mul_f32_e32 v128, v1, v172
	v_fma_f32 v123, v2, v129, -v123
	v_fmac_f32_e32 v128, v0, v171
	v_mul_f32_e32 v129, v1, v171
	v_mul_f32_e32 v171, v3, v131
	v_fmac_f32_e32 v171, v2, v130
	v_mul_f32_e32 v130, v3, v130
	v_fma_f32 v130, v2, v131, -v130
	v_mul_f32_e32 v131, v1, v174
	v_mul_f32_e32 v1, v1, v173
	v_fma_f32 v129, v0, v172, -v129
	v_fmac_f32_e32 v131, v0, v173
	v_fma_f32 v172, v0, v174, -v1
	s_waitcnt lgkmcnt(0)
	v_mul_f32_e32 v173, v3, v105
	v_mul_f32_e32 v0, v3, v104
	v_add_f32_e32 v1, v185, v115
	v_fmac_f32_e32 v173, v2, v104
	v_fma_f32 v174, v2, v105, -v0
	v_fma_f32 v2, -0.5, v1, v108
	v_add_f32_e32 v3, v114, v116
	v_sub_f32_e32 v1, v114, v116
	v_mov_b32_e32 v104, v2
	v_fma_f32 v3, -0.5, v3, v109
	v_add_f32_e32 v0, v108, v185
	v_fmac_f32_e32 v104, 0xbf5db3d7, v1
	v_fmac_f32_e32 v2, 0x3f5db3d7, v1
	v_add_f32_e32 v1, v109, v114
	v_sub_f32_e32 v108, v185, v115
	v_mov_b32_e32 v105, v3
	v_add_f32_e32 v109, v117, v121
	v_fmac_f32_e32 v105, 0x3f5db3d7, v108
	v_fmac_f32_e32 v3, 0xbf5db3d7, v108
	v_add_f32_e32 v108, v110, v117
	v_fma_f32 v110, -0.5, v109, v110
	v_sub_f32_e32 v109, v120, v118
	v_mov_b32_e32 v114, v110
	v_add_f32_e32 v1, v1, v116
	v_fmac_f32_e32 v114, 0xbf5db3d7, v109
	v_fmac_f32_e32 v110, 0x3f5db3d7, v109
	v_add_f32_e32 v109, v111, v120
	v_sub_f32_e32 v116, v117, v121
	v_add_f32_e32 v117, v204, v122
	v_add_f32_e32 v0, v0, v115
	;; [unrolled: 1-line block ×4, first 2 shown]
	v_fma_f32 v118, -0.5, v117, v124
	v_fmac_f32_e32 v111, -0.5, v115
	v_sub_f32_e32 v117, v119, v123
	v_mov_b32_e32 v120, v118
	v_mov_b32_e32 v115, v111
	v_fmac_f32_e32 v120, 0xbf5db3d7, v117
	v_fmac_f32_e32 v118, 0x3f5db3d7, v117
	v_add_f32_e32 v117, v125, v119
	v_add_f32_e32 v119, v119, v123
	v_fmac_f32_e32 v115, 0x3f5db3d7, v116
	v_fmac_f32_e32 v111, 0xbf5db3d7, v116
	v_add_f32_e32 v116, v124, v204
	v_fma_f32 v119, -0.5, v119, v125
	v_add_f32_e32 v108, v108, v121
	v_add_f32_e32 v116, v116, v122
	;; [unrolled: 1-line block ×3, first 2 shown]
	v_sub_f32_e32 v122, v204, v122
	v_mov_b32_e32 v121, v119
	v_add_f32_e32 v123, v128, v171
	v_fmac_f32_e32 v121, 0x3f5db3d7, v122
	v_fmac_f32_e32 v119, 0xbf5db3d7, v122
	v_add_f32_e32 v122, v126, v128
	v_fma_f32 v126, -0.5, v123, v126
	v_sub_f32_e32 v123, v129, v130
	v_mov_b32_e32 v124, v126
	v_add_f32_e32 v125, v129, v130
	v_fmac_f32_e32 v124, 0xbf5db3d7, v123
	v_fmac_f32_e32 v126, 0x3f5db3d7, v123
	v_add_f32_e32 v123, v127, v129
	v_fmac_f32_e32 v127, -0.5, v125
	v_sub_f32_e32 v128, v128, v171
	v_mov_b32_e32 v125, v127
	v_add_f32_e32 v129, v131, v173
	v_fmac_f32_e32 v125, 0x3f5db3d7, v128
	v_fmac_f32_e32 v127, 0xbf5db3d7, v128
	v_add_f32_e32 v128, v112, v131
	v_fma_f32 v112, -0.5, v129, v112
	v_add_f32_e32 v122, v122, v171
	v_add_f32_e32 v123, v123, v130
	v_sub_f32_e32 v129, v172, v174
	v_mov_b32_e32 v130, v112
	v_add_f32_e32 v171, v172, v174
	v_fmac_f32_e32 v130, 0xbf5db3d7, v129
	v_fmac_f32_e32 v112, 0x3f5db3d7, v129
	v_add_f32_e32 v129, v113, v172
	v_fmac_f32_e32 v113, -0.5, v171
	v_sub_f32_e32 v171, v131, v173
	v_mov_b32_e32 v131, v113
	v_add_f32_e32 v128, v128, v173
	v_add_f32_e32 v129, v129, v174
	v_fmac_f32_e32 v131, 0x3f5db3d7, v171
	v_fmac_f32_e32 v113, 0xbf5db3d7, v171
	s_barrier
	ds_write2_b64 v186, v[0:1], v[104:105] offset1:2
	ds_write_b64 v186, v[2:3] offset:32
	ds_write2_b64 v187, v[108:109], v[114:115] offset1:2
	ds_write_b64 v187, v[110:111] offset:32
	ds_write2_b64 v188, v[116:117], v[120:121] offset1:2
	ds_write_b64 v188, v[118:119] offset:32
	ds_write2_b64 v189, v[122:123], v[124:125] offset1:2
	ds_write_b64 v189, v[126:127] offset:32
	ds_write2_b64 v190, v[128:129], v[130:131] offset1:2
	ds_write_b64 v190, v[112:113] offset:32
	s_waitcnt lgkmcnt(0)
	s_barrier
	ds_read2_b64 v[0:3], v177 offset1:126
	ds_read2_b64 v[108:111], v179 offset0:120 offset1:246
	ds_read2_b64 v[112:115], v180 offset0:108 offset1:234
	;; [unrolled: 1-line block ×6, first 2 shown]
	ds_read_b64 v[104:105], v177 offset:14112
	s_waitcnt lgkmcnt(6)
	v_mul_f32_e32 v171, v21, v111
	v_mul_f32_e32 v21, v21, v110
	v_fmac_f32_e32 v171, v20, v110
	v_fma_f32 v20, v20, v111, -v21
	s_waitcnt lgkmcnt(5)
	v_mul_f32_e32 v21, v23, v113
	v_mul_f32_e32 v23, v23, v112
	v_fmac_f32_e32 v21, v22, v112
	v_fma_f32 v22, v22, v113, -v23
	;; [unrolled: 5-line block ×3, first 2 shown]
	v_mul_f32_e32 v16, v19, v114
	v_mul_f32_e32 v111, v19, v115
	v_fma_f32 v112, v18, v115, -v16
	v_mul_f32_e32 v113, v25, v119
	s_waitcnt lgkmcnt(2)
	v_mul_f32_e32 v115, v27, v125
	v_fmac_f32_e32 v113, v24, v118
	v_mul_f32_e32 v16, v25, v118
	v_fmac_f32_e32 v115, v26, v124
	v_fmac_f32_e32 v111, v18, v114
	v_fma_f32 v114, v24, v119, -v16
	v_mul_f32_e32 v16, v27, v124
	v_add_f32_e32 v25, v113, v115
	v_fma_f32 v27, v26, v125, -v16
	s_waitcnt lgkmcnt(1)
	v_mul_f32_e32 v116, v29, v129
	v_mul_f32_e32 v16, v29, v128
	v_fma_f32 v26, -0.5, v25, v120
	v_fmac_f32_e32 v116, v28, v128
	v_fma_f32 v117, v28, v129, -v16
	v_sub_f32_e32 v25, v114, v27
	v_mov_b32_e32 v28, v26
	v_fmac_f32_e32 v28, 0xbf5db3d7, v25
	v_fmac_f32_e32 v26, 0x3f5db3d7, v25
	v_add_f32_e32 v25, v121, v114
	v_mul_f32_e32 v118, v31, v127
	v_add_f32_e32 v25, v25, v27
	v_add_f32_e32 v27, v114, v27
	v_fmac_f32_e32 v118, v30, v126
	v_mul_f32_e32 v16, v31, v126
	v_fma_f32 v27, -0.5, v27, v121
	v_fma_f32 v119, v30, v127, -v16
	v_mul_f32_e32 v16, v33, v130
	v_sub_f32_e32 v30, v113, v115
	v_mov_b32_e32 v29, v27
	v_add_f32_e32 v31, v116, v118
	v_mul_f32_e32 v124, v33, v131
	v_fma_f32 v125, v32, v131, -v16
	s_waitcnt lgkmcnt(0)
	v_mul_f32_e32 v16, v35, v104
	v_add_f32_e32 v17, v171, v21
	v_fmac_f32_e32 v29, 0x3f5db3d7, v30
	v_fmac_f32_e32 v27, 0xbf5db3d7, v30
	v_add_f32_e32 v30, v122, v116
	v_fma_f32 v122, -0.5, v31, v122
	v_fmac_f32_e32 v124, v32, v130
	v_mul_f32_e32 v126, v35, v105
	v_fma_f32 v105, v34, v105, -v16
	v_add_f32_e32 v16, v0, v171
	v_fma_f32 v0, -0.5, v17, v0
	v_sub_f32_e32 v31, v117, v119
	v_mov_b32_e32 v32, v122
	v_add_f32_e32 v33, v117, v119
	v_fmac_f32_e32 v126, v34, v104
	v_sub_f32_e32 v17, v20, v22
	v_mov_b32_e32 v18, v0
	v_add_f32_e32 v19, v20, v22
	v_fmac_f32_e32 v32, 0xbf5db3d7, v31
	v_fmac_f32_e32 v122, 0x3f5db3d7, v31
	v_add_f32_e32 v31, v123, v117
	v_fmac_f32_e32 v123, -0.5, v33
	v_fmac_f32_e32 v18, 0xbf5db3d7, v17
	v_fmac_f32_e32 v0, 0x3f5db3d7, v17
	v_add_f32_e32 v17, v1, v20
	v_fma_f32 v1, -0.5, v19, v1
	v_sub_f32_e32 v34, v116, v118
	v_mov_b32_e32 v33, v123
	v_add_f32_e32 v35, v124, v126
	v_add_f32_e32 v16, v16, v21
	v_sub_f32_e32 v20, v171, v21
	v_mov_b32_e32 v19, v1
	v_add_f32_e32 v21, v23, v111
	v_fmac_f32_e32 v33, 0x3f5db3d7, v34
	v_fmac_f32_e32 v123, 0xbf5db3d7, v34
	v_add_f32_e32 v34, v108, v124
	v_fma_f32 v108, -0.5, v35, v108
	v_fmac_f32_e32 v19, 0x3f5db3d7, v20
	v_fmac_f32_e32 v1, 0xbf5db3d7, v20
	v_add_f32_e32 v20, v2, v23
	v_fma_f32 v2, -0.5, v21, v2
	v_sub_f32_e32 v35, v125, v105
	v_mov_b32_e32 v104, v108
	v_add_f32_e32 v17, v17, v22
	v_sub_f32_e32 v21, v110, v112
	v_mov_b32_e32 v22, v2
	v_add_f32_e32 v24, v110, v112
	v_fmac_f32_e32 v104, 0xbf5db3d7, v35
	v_fmac_f32_e32 v108, 0x3f5db3d7, v35
	v_add_f32_e32 v35, v109, v125
	v_fmac_f32_e32 v22, 0xbf5db3d7, v21
	v_fmac_f32_e32 v2, 0x3f5db3d7, v21
	v_add_f32_e32 v21, v3, v110
	v_fmac_f32_e32 v3, -0.5, v24
	v_add_f32_e32 v35, v35, v105
	v_add_f32_e32 v105, v125, v105
	v_sub_f32_e32 v24, v23, v111
	v_mov_b32_e32 v23, v3
	v_fmac_f32_e32 v109, -0.5, v105
	v_fmac_f32_e32 v23, 0x3f5db3d7, v24
	v_fmac_f32_e32 v3, 0xbf5db3d7, v24
	v_add_f32_e32 v24, v120, v113
	v_sub_f32_e32 v110, v124, v126
	v_mov_b32_e32 v105, v109
	v_add_f32_e32 v20, v20, v111
	v_add_f32_e32 v21, v21, v112
	v_add_f32_e32 v24, v24, v115
	v_add_f32_e32 v30, v30, v118
	v_add_f32_e32 v31, v31, v119
	v_add_f32_e32 v34, v34, v126
	v_fmac_f32_e32 v105, 0x3f5db3d7, v110
	v_fmac_f32_e32 v109, 0xbf5db3d7, v110
	s_barrier
	ds_write2_b64 v191, v[16:17], v[18:19] offset1:6
	ds_write_b64 v191, v[0:1] offset:96
	ds_write2_b64 v192, v[20:21], v[22:23] offset1:6
	ds_write_b64 v192, v[2:3] offset:96
	ds_write2_b64 v193, v[24:25], v[28:29] offset1:6
	ds_write_b64 v193, v[26:27] offset:96
	ds_write2_b64 v194, v[30:31], v[32:33] offset1:6
	ds_write_b64 v194, v[122:123] offset:96
	ds_write2_b64 v195, v[34:35], v[104:105] offset1:6
	ds_write_b64 v195, v[108:109] offset:96
	s_waitcnt lgkmcnt(0)
	s_barrier
	ds_read2_b64 v[16:19], v177 offset1:126
	ds_read2_b64 v[0:3], v179 offset0:120 offset1:246
	ds_read2_b64 v[20:23], v180 offset0:108 offset1:234
	;; [unrolled: 1-line block ×6, first 2 shown]
	ds_read_b64 v[104:105], v177 offset:14112
	s_waitcnt lgkmcnt(6)
	v_mul_f32_e32 v112, v41, v3
	v_fmac_f32_e32 v112, v40, v2
	v_mul_f32_e32 v2, v41, v2
	v_fma_f32 v40, v40, v3, -v2
	s_waitcnt lgkmcnt(5)
	v_mul_f32_e32 v2, v43, v20
	v_mul_f32_e32 v41, v43, v21
	v_fma_f32 v21, v42, v21, -v2
	s_waitcnt lgkmcnt(4)
	v_mul_f32_e32 v2, v37, v24
	v_fmac_f32_e32 v41, v42, v20
	v_mul_f32_e32 v42, v37, v25
	v_fma_f32 v25, v36, v25, -v2
	v_mul_f32_e32 v2, v39, v22
	v_fma_f32 v37, v38, v23, -v2
	v_mul_f32_e32 v2, v45, v26
	v_fmac_f32_e32 v42, v36, v24
	v_mul_f32_e32 v36, v39, v23
	v_fma_f32 v39, v44, v27, -v2
	s_waitcnt lgkmcnt(2)
	v_mul_f32_e32 v2, v47, v32
	v_mul_f32_e32 v43, v47, v33
	v_fma_f32 v33, v46, v33, -v2
	s_waitcnt lgkmcnt(1)
	v_mul_f32_e32 v2, v49, v108
	v_fmac_f32_e32 v36, v38, v22
	v_mul_f32_e32 v38, v45, v27
	v_fma_f32 v45, v48, v109, -v2
	v_mul_f32_e32 v2, v51, v34
	v_fma_f32 v47, v50, v35, -v2
	v_mul_f32_e32 v2, v53, v110
	v_fmac_f32_e32 v38, v44, v26
	v_mul_f32_e32 v44, v49, v109
	v_fma_f32 v49, v52, v111, -v2
	s_waitcnt lgkmcnt(0)
	v_mul_f32_e32 v2, v55, v104
	v_add_f32_e32 v3, v112, v41
	v_fmac_f32_e32 v43, v46, v32
	v_mul_f32_e32 v46, v51, v35
	v_fma_f32 v51, v54, v105, -v2
	v_add_f32_e32 v2, v16, v112
	v_fma_f32 v16, -0.5, v3, v16
	v_sub_f32_e32 v3, v40, v21
	v_mov_b32_e32 v20, v16
	v_fmac_f32_e32 v20, 0xbf5db3d7, v3
	v_fmac_f32_e32 v16, 0x3f5db3d7, v3
	v_add_f32_e32 v3, v17, v40
	v_add_f32_e32 v3, v3, v21
	;; [unrolled: 1-line block ×3, first 2 shown]
	v_fma_f32 v17, -0.5, v21, v17
	v_sub_f32_e32 v22, v112, v41
	v_mov_b32_e32 v21, v17
	v_add_f32_e32 v23, v42, v36
	v_fmac_f32_e32 v21, 0x3f5db3d7, v22
	v_fmac_f32_e32 v17, 0xbf5db3d7, v22
	v_add_f32_e32 v22, v18, v42
	v_fma_f32 v18, -0.5, v23, v18
	v_sub_f32_e32 v23, v25, v37
	v_mov_b32_e32 v24, v18
	v_fmac_f32_e32 v24, 0xbf5db3d7, v23
	v_fmac_f32_e32 v18, 0x3f5db3d7, v23
	v_add_f32_e32 v23, v19, v25
	v_add_f32_e32 v25, v25, v37
	v_fmac_f32_e32 v19, -0.5, v25
	v_sub_f32_e32 v26, v42, v36
	v_mov_b32_e32 v25, v19
	v_add_f32_e32 v27, v38, v43
	v_fmac_f32_e32 v25, 0x3f5db3d7, v26
	v_fmac_f32_e32 v19, 0xbf5db3d7, v26
	v_add_f32_e32 v26, v28, v38
	v_fma_f32 v28, -0.5, v27, v28
	v_sub_f32_e32 v27, v39, v33
	v_mov_b32_e32 v32, v28
	v_fmac_f32_e32 v32, 0xbf5db3d7, v27
	v_fmac_f32_e32 v28, 0x3f5db3d7, v27
	v_add_f32_e32 v27, v29, v39
	v_add_f32_e32 v27, v27, v33
	;; [unrolled: 1-line block ×3, first 2 shown]
	v_fmac_f32_e32 v44, v48, v108
	v_fmac_f32_e32 v46, v50, v34
	v_fma_f32 v29, -0.5, v33, v29
	v_sub_f32_e32 v34, v38, v43
	v_mov_b32_e32 v33, v29
	v_add_f32_e32 v35, v44, v46
	v_fmac_f32_e32 v33, 0x3f5db3d7, v34
	v_fmac_f32_e32 v29, 0xbf5db3d7, v34
	v_add_f32_e32 v34, v30, v44
	v_fma_f32 v30, -0.5, v35, v30
	v_mul_f32_e32 v48, v53, v111
	v_mul_f32_e32 v50, v55, v105
	v_add_f32_e32 v22, v22, v36
	v_add_f32_e32 v23, v23, v37
	v_sub_f32_e32 v35, v45, v47
	v_mov_b32_e32 v36, v30
	v_add_f32_e32 v37, v45, v47
	v_fmac_f32_e32 v48, v52, v110
	v_fmac_f32_e32 v50, v54, v104
	;; [unrolled: 1-line block ×4, first 2 shown]
	v_add_f32_e32 v35, v31, v45
	v_fmac_f32_e32 v31, -0.5, v37
	v_sub_f32_e32 v38, v44, v46
	v_mov_b32_e32 v37, v31
	v_add_f32_e32 v39, v48, v50
	v_fmac_f32_e32 v37, 0x3f5db3d7, v38
	v_fmac_f32_e32 v31, 0xbf5db3d7, v38
	v_add_f32_e32 v38, v0, v48
	v_fma_f32 v0, -0.5, v39, v0
	v_add_f32_e32 v2, v2, v41
	v_sub_f32_e32 v39, v49, v51
	v_mov_b32_e32 v40, v0
	v_add_f32_e32 v41, v49, v51
	v_fmac_f32_e32 v40, 0xbf5db3d7, v39
	v_fmac_f32_e32 v0, 0x3f5db3d7, v39
	v_add_f32_e32 v39, v1, v49
	v_fmac_f32_e32 v1, -0.5, v41
	v_sub_f32_e32 v42, v48, v50
	v_mov_b32_e32 v41, v1
	v_add_f32_e32 v26, v26, v43
	v_add_f32_e32 v34, v34, v46
	;; [unrolled: 1-line block ×5, first 2 shown]
	v_fmac_f32_e32 v41, 0x3f5db3d7, v42
	v_fmac_f32_e32 v1, 0xbf5db3d7, v42
	s_barrier
	ds_write2_b64 v196, v[2:3], v[20:21] offset1:18
	ds_write_b64 v196, v[16:17] offset:288
	ds_write2_b64 v197, v[22:23], v[24:25] offset1:18
	ds_write_b64 v197, v[18:19] offset:288
	;; [unrolled: 2-line block ×5, first 2 shown]
	v_add_u32_e32 v2, 0x800, v177
	s_waitcnt lgkmcnt(0)
	s_barrier
	ds_read2_b64 v[40:43], v2 offset0:14 offset1:140
	v_add_u32_e32 v2, 0x1000, v177
	ds_read2_b64 v[36:39], v2 offset0:28 offset1:154
	v_add_u32_e32 v2, 0x1800, v177
	;; [unrolled: 2-line block ×5, first 2 shown]
	ds_read2_b64 v[16:19], v177 offset1:126
	ds_read2_b64 v[20:23], v2 offset0:84 offset1:210
	s_and_saveexec_b64 s[4:5], s[2:3]
	s_cbranch_execz .LBB0_19
; %bb.18:
	ds_read_b64 v[0:1], v177 offset:2016
	ds_read_b64 v[106:107], v177 offset:4176
	;; [unrolled: 1-line block ×7, first 2 shown]
.LBB0_19:
	s_or_b64 exec, exec, s[4:5]
	s_waitcnt lgkmcnt(6)
	v_mul_f32_e32 v2, v81, v41
	v_fmac_f32_e32 v2, v80, v40
	v_mul_f32_e32 v3, v81, v40
	s_waitcnt lgkmcnt(5)
	v_mul_f32_e32 v40, v83, v37
	v_fmac_f32_e32 v40, v82, v36
	v_mul_f32_e32 v36, v83, v36
	v_fma_f32 v36, v82, v37, -v36
	s_waitcnt lgkmcnt(4)
	v_mul_f32_e32 v37, v73, v33
	v_fmac_f32_e32 v37, v72, v32
	v_mul_f32_e32 v32, v73, v32
	v_fma_f32 v32, v72, v33, -v32
	;; [unrolled: 5-line block ×5, first 2 shown]
	v_fma_f32 v20, v70, v21, -v20
	v_mul_f32_e32 v41, v65, v43
	v_mul_f32_e32 v21, v65, v42
	v_fmac_f32_e32 v41, v64, v42
	v_fma_f32 v42, v64, v43, -v21
	v_mul_f32_e32 v43, v67, v39
	v_mul_f32_e32 v21, v67, v38
	v_fmac_f32_e32 v43, v66, v38
	;; [unrolled: 4-line block ×4, first 2 shown]
	v_fma_f32 v30, v62, v31, -v21
	v_mul_f32_e32 v21, v57, v26
	v_fma_f32 v44, v56, v27, -v21
	v_mul_f32_e32 v45, v59, v23
	v_mul_f32_e32 v21, v59, v22
	;; [unrolled: 1-line block ×3, first 2 shown]
	v_fmac_f32_e32 v45, v58, v22
	v_fma_f32 v46, v58, v23, -v21
	v_add_f32_e32 v21, v2, v25
	v_add_f32_e32 v22, v3, v20
	v_sub_f32_e32 v3, v3, v20
	v_add_f32_e32 v20, v40, v29
	v_fmac_f32_e32 v31, v56, v26
	v_sub_f32_e32 v2, v2, v25
	v_add_f32_e32 v23, v36, v24
	v_sub_f32_e32 v25, v40, v29
	v_add_f32_e32 v26, v37, v33
	v_add_f32_e32 v27, v32, v28
	v_sub_f32_e32 v29, v33, v37
	v_sub_f32_e32 v28, v28, v32
	v_add_f32_e32 v32, v20, v21
	v_sub_f32_e32 v24, v36, v24
	v_add_f32_e32 v33, v23, v22
	v_sub_f32_e32 v36, v20, v21
	v_sub_f32_e32 v21, v21, v26
	;; [unrolled: 1-line block ×3, first 2 shown]
	v_add_f32_e32 v40, v29, v25
	v_add_f32_e32 v26, v26, v32
	v_sub_f32_e32 v37, v23, v22
	v_sub_f32_e32 v22, v22, v27
	;; [unrolled: 1-line block ×3, first 2 shown]
	v_add_f32_e32 v47, v28, v24
	v_sub_f32_e32 v48, v29, v25
	v_sub_f32_e32 v29, v2, v29
	;; [unrolled: 1-line block ×3, first 2 shown]
	v_add_f32_e32 v27, v27, v33
	v_add_f32_e32 v32, v40, v2
	v_add_f32_e32 v2, v16, v26
	v_sub_f32_e32 v49, v28, v24
	v_sub_f32_e32 v28, v3, v28
	;; [unrolled: 1-line block ×3, first 2 shown]
	v_add_f32_e32 v33, v47, v3
	v_add_f32_e32 v3, v17, v27
	v_mov_b32_e32 v50, v2
	v_mul_f32_e32 v16, 0x3f4a47b2, v21
	v_mul_f32_e32 v17, 0x3f4a47b2, v22
	;; [unrolled: 1-line block ×5, first 2 shown]
	s_mov_b32 s6, 0xbf5ff5aa
	v_mul_f32_e32 v48, 0xbf5ff5aa, v25
	v_mul_f32_e32 v49, 0xbf5ff5aa, v24
	v_fmac_f32_e32 v50, 0xbf955555, v26
	v_mov_b32_e32 v26, v3
	s_mov_b32 s7, 0x3f3bfb3b
	s_mov_b32 s14, 0xbf3bfb3b
	;; [unrolled: 1-line block ×3, first 2 shown]
	v_mul_f32_e32 v22, 0x3d64c772, v23
	v_fmac_f32_e32 v26, 0xbf955555, v27
	v_fma_f32 v21, v36, s7, -v21
	v_fma_f32 v27, v36, s14, -v16
	v_fmac_f32_e32 v16, 0x3d64c772, v20
	v_fma_f32 v20, v37, s14, -v17
	v_fmac_f32_e32 v17, 0x3d64c772, v23
	;; [unrolled: 2-line block ×4, first 2 shown]
	v_fma_f32 v29, v29, s15, -v48
	v_fma_f32 v28, v28, s15, -v49
	;; [unrolled: 1-line block ×3, first 2 shown]
	v_add_f32_e32 v36, v16, v50
	v_add_f32_e32 v37, v17, v26
	;; [unrolled: 1-line block ×5, first 2 shown]
	v_fmac_f32_e32 v40, 0xbee1c552, v32
	v_fmac_f32_e32 v29, 0xbee1c552, v32
	;; [unrolled: 1-line block ×3, first 2 shown]
	v_add_f32_e32 v49, v22, v26
	v_fmac_f32_e32 v47, 0xbee1c552, v33
	v_fmac_f32_e32 v25, 0xbee1c552, v32
	v_sub_f32_e32 v17, v37, v40
	v_add_f32_e32 v20, v28, v27
	v_sub_f32_e32 v21, v50, v29
	v_sub_f32_e32 v26, v27, v28
	v_add_f32_e32 v27, v29, v50
	v_add_f32_e32 v29, v40, v37
	;; [unrolled: 1-line block ×4, first 2 shown]
	v_fmac_f32_e32 v24, 0xbee1c552, v33
	v_add_f32_e32 v16, v47, v36
	v_sub_f32_e32 v28, v36, v47
	v_add_f32_e32 v33, v42, v46
	v_sub_f32_e32 v36, v41, v45
	v_sub_f32_e32 v37, v42, v46
	v_add_f32_e32 v41, v38, v44
	v_sub_f32_e32 v31, v43, v31
	v_add_f32_e32 v42, v39, v35
	v_add_f32_e32 v43, v34, v30
	v_sub_f32_e32 v30, v30, v34
	v_add_f32_e32 v34, v40, v32
	v_sub_f32_e32 v35, v35, v39
	v_add_f32_e32 v39, v41, v33
	v_add_f32_e32 v34, v42, v34
	v_sub_f32_e32 v38, v38, v44
	v_add_f32_e32 v39, v43, v39
	;; [unrolled: 3-line block ×3, first 2 shown]
	v_add_f32_e32 v24, v24, v48
	v_sub_f32_e32 v25, v49, v25
	v_sub_f32_e32 v44, v40, v32
	;; [unrolled: 1-line block ×7, first 2 shown]
	v_add_f32_e32 v46, v35, v31
	v_add_f32_e32 v47, v30, v38
	v_sub_f32_e32 v48, v35, v31
	v_sub_f32_e32 v49, v30, v38
	;; [unrolled: 1-line block ×4, first 2 shown]
	v_add_f32_e32 v19, v19, v39
	v_mov_b32_e32 v50, v18
	v_sub_f32_e32 v35, v36, v35
	v_sub_f32_e32 v30, v37, v30
	v_add_f32_e32 v36, v46, v36
	v_add_f32_e32 v37, v47, v37
	v_mul_f32_e32 v32, 0x3f4a47b2, v32
	v_mul_f32_e32 v33, 0x3f4a47b2, v33
	;; [unrolled: 1-line block ×8, first 2 shown]
	v_fmac_f32_e32 v50, 0xbf955555, v34
	v_mov_b32_e32 v34, v19
	v_fmac_f32_e32 v34, 0xbf955555, v39
	v_fma_f32 v39, v44, s7, -v42
	v_fma_f32 v42, v45, s7, -v43
	;; [unrolled: 1-line block ×3, first 2 shown]
	v_fmac_f32_e32 v32, 0x3d64c772, v40
	v_fma_f32 v40, v45, s14, -v33
	v_fmac_f32_e32 v33, 0x3d64c772, v41
	v_fma_f32 v41, v31, s6, -v46
	;; [unrolled: 2-line block ×4, first 2 shown]
	v_fma_f32 v45, v30, s15, -v49
	v_add_f32_e32 v48, v32, v50
	v_add_f32_e32 v49, v33, v34
	;; [unrolled: 1-line block ×6, first 2 shown]
	v_fmac_f32_e32 v46, 0xbee1c552, v36
	v_fmac_f32_e32 v47, 0xbee1c552, v37
	;; [unrolled: 1-line block ×6, first 2 shown]
	s_barrier
	ds_write2_b64 v202, v[2:3], v[16:17] offset1:54
	ds_write2_b64 v202, v[20:21], v[22:23] offset0:108 offset1:162
	v_add_u32_e32 v2, 0x400, v202
	v_add_f32_e32 v30, v47, v48
	v_sub_f32_e32 v31, v49, v46
	v_add_f32_e32 v32, v45, v43
	v_sub_f32_e32 v33, v40, v44
	v_sub_f32_e32 v34, v39, v38
	v_add_f32_e32 v35, v41, v42
	v_add_f32_e32 v36, v38, v39
	v_sub_f32_e32 v37, v42, v41
	v_sub_f32_e32 v38, v43, v45
	v_add_f32_e32 v39, v44, v40
	ds_write2_b64 v2, v[24:25], v[26:27] offset0:88 offset1:142
	ds_write_b64 v202, v[28:29] offset:2592
	ds_write2_b64 v203, v[18:19], v[30:31] offset1:54
	ds_write2_b64 v203, v[32:33], v[34:35] offset0:108 offset1:162
	v_add_u32_e32 v2, 0x400, v203
	v_sub_f32_e32 v40, v48, v47
	v_add_f32_e32 v41, v46, v49
	ds_write2_b64 v2, v[36:37], v[38:39] offset0:88 offset1:142
	ds_write_b64 v203, v[40:41] offset:2592
	s_and_saveexec_b64 s[4:5], s[2:3]
	s_cbranch_execz .LBB0_21
; %bb.20:
	v_mul_f32_e32 v2, v5, v107
	v_mul_f32_e32 v16, v15, v170
	;; [unrolled: 1-line block ×6, first 2 shown]
	v_fmac_f32_e32 v2, v4, v106
	v_fmac_f32_e32 v16, v14, v169
	;; [unrolled: 1-line block ×6, first 2 shown]
	v_sub_f32_e32 v17, v2, v16
	v_sub_f32_e32 v3, v18, v19
	;; [unrolled: 1-line block ×5, first 2 shown]
	v_add_f32_e32 v3, v3, v23
	v_add_f32_e32 v26, v3, v17
	v_mul_f32_e32 v3, v15, v169
	v_fma_f32 v14, v14, v170, -v3
	v_mul_f32_e32 v3, v5, v106
	v_fma_f32 v4, v4, v107, -v3
	v_mul_f32_e32 v3, v9, v163
	v_add_f32_e32 v16, v16, v2
	v_add_f32_e32 v2, v19, v18
	v_fma_f32 v8, v8, v164, -v3
	v_mul_f32_e32 v3, v11, v167
	v_sub_f32_e32 v18, v16, v2
	v_fma_f32 v9, v10, v168, -v3
	v_mul_f32_e32 v18, 0x3f4a47b2, v18
	v_add_f32_e32 v19, v22, v21
	v_add_f32_e32 v5, v14, v4
	;; [unrolled: 1-line block ×3, first 2 shown]
	v_mul_f32_e32 v11, v13, v165
	v_mul_f32_e32 v7, v7, v161
	v_sub_f32_e32 v21, v2, v19
	v_mov_b32_e32 v27, v18
	v_sub_f32_e32 v10, v5, v3
	v_fma_f32 v11, v12, v166, -v11
	v_fma_f32 v6, v6, v162, -v7
	v_mul_f32_e32 v22, 0x3d64c772, v21
	v_fmac_f32_e32 v27, 0x3d64c772, v21
	v_add_f32_e32 v21, v19, v16
	v_mul_f32_e32 v10, 0x3f4a47b2, v10
	v_add_f32_e32 v7, v11, v6
	v_add_f32_e32 v2, v2, v21
	v_sub_f32_e32 v12, v3, v7
	v_mov_b32_e32 v15, v10
	v_add_f32_e32 v0, v0, v2
	v_mul_f32_e32 v13, 0x3d64c772, v12
	v_fmac_f32_e32 v15, 0x3d64c772, v12
	v_add_f32_e32 v12, v7, v5
	v_mov_b32_e32 v21, v0
	v_add_f32_e32 v3, v3, v12
	v_fmac_f32_e32 v21, 0xbf955555, v2
	v_sub_f32_e32 v2, v9, v8
	v_sub_f32_e32 v6, v6, v11
	v_add_f32_e32 v1, v1, v3
	v_sub_f32_e32 v4, v4, v14
	v_sub_f32_e32 v9, v2, v6
	v_mul_f32_e32 v24, 0x3f08b237, v24
	v_mov_b32_e32 v12, v1
	v_sub_f32_e32 v8, v4, v2
	v_mul_f32_e32 v9, 0x3f08b237, v9
	v_add_f32_e32 v2, v2, v6
	v_sub_f32_e32 v7, v7, v5
	v_sub_f32_e32 v6, v6, v4
	v_mov_b32_e32 v25, v24
	v_fmac_f32_e32 v12, 0xbf955555, v3
	v_mov_b32_e32 v14, v9
	v_add_f32_e32 v11, v2, v4
	v_sub_f32_e32 v17, v23, v17
	v_fma_f32 v5, v7, s14, -v10
	v_sub_f32_e32 v16, v19, v16
	v_mul_f32_e32 v4, 0xbf5ff5aa, v6
	v_fma_f32 v7, v7, s7, -v13
	v_fmac_f32_e32 v25, 0xbeae86e6, v20
	v_add_f32_e32 v15, v15, v12
	v_fmac_f32_e32 v14, 0xbeae86e6, v8
	v_mul_f32_e32 v23, 0xbf5ff5aa, v17
	v_add_f32_e32 v10, v5, v12
	v_fma_f32 v19, v8, s15, -v4
	v_add_f32_e32 v8, v7, v12
	v_fma_f32 v12, v17, s6, -v24
	v_fma_f32 v13, v6, s6, -v9
	;; [unrolled: 1-line block ×3, first 2 shown]
	v_fmac_f32_e32 v25, 0xbee1c552, v26
	v_add_f32_e32 v27, v27, v21
	v_fmac_f32_e32 v14, 0xbee1c552, v11
	v_fma_f32 v20, v20, s15, -v23
	v_fma_f32 v18, v16, s14, -v18
	v_fmac_f32_e32 v19, 0xbee1c552, v11
	v_fmac_f32_e32 v12, 0xbee1c552, v26
	;; [unrolled: 1-line block ×3, first 2 shown]
	v_add_f32_e32 v11, v6, v21
	v_sub_f32_e32 v2, v27, v14
	v_fmac_f32_e32 v20, 0xbee1c552, v26
	v_add_f32_e32 v18, v18, v21
	v_sub_f32_e32 v7, v8, v12
	v_add_f32_e32 v6, v13, v11
	v_add_f32_e32 v9, v12, v8
	v_sub_f32_e32 v8, v11, v13
	v_sub_f32_e32 v13, v15, v25
	v_add_f32_e32 v12, v14, v27
	v_add_u32_e32 v14, 0x2c00, v201
	v_add_f32_e32 v5, v20, v10
	v_sub_f32_e32 v11, v10, v20
	v_add_f32_e32 v10, v19, v18
	ds_write2_b64 v14, v[0:1], v[12:13] offset0:104 offset1:158
	v_add_u32_e32 v0, 0x3000, v201
	v_add_f32_e32 v3, v25, v15
	v_sub_f32_e32 v4, v18, v19
	ds_write2_b64 v0, v[10:11], v[8:9] offset0:84 offset1:138
	ds_write2_b64 v0, v[6:7], v[4:5] offset0:192 offset1:246
	ds_write_b64 v201, v[2:3] offset:14688
.LBB0_21:
	s_or_b64 exec, exec, s[4:5]
	v_add_u32_e32 v1, 0x400, v177
	s_waitcnt lgkmcnt(0)
	s_barrier
	ds_read2_b64 v[6:9], v1 offset0:124 offset1:250
	v_add_u32_e32 v0, 0x1400, v177
	ds_read2_b64 v[10:13], v0 offset0:116 offset1:242
	v_add_u32_e32 v0, 0x1c00, v177
	;; [unrolled: 2-line block ×4, first 2 shown]
	ds_read2_b64 v[22:25], v0 offset0:120 offset1:246
	s_waitcnt lgkmcnt(4)
	v_mul_f32_e32 v32, v93, v9
	v_fmac_f32_e32 v32, v92, v8
	v_mul_f32_e32 v8, v93, v8
	v_add_u32_e32 v26, 0x2400, v177
	v_fma_f32 v33, v92, v9, -v8
	s_waitcnt lgkmcnt(3)
	v_mul_f32_e32 v8, v95, v10
	ds_read2_b64 v[2:5], v177 offset1:126
	ds_read2_b64 v[26:29], v26 offset0:108 offset1:234
	ds_read_b64 v[30:31], v177 offset:14112
	v_fma_f32 v35, v94, v11, -v8
	s_waitcnt lgkmcnt(5)
	v_mul_f32_e32 v36, v77, v17
	v_mul_f32_e32 v8, v77, v16
	v_fmac_f32_e32 v36, v76, v16
	v_fma_f32 v16, v76, v17, -v8
	s_waitcnt lgkmcnt(4)
	v_mul_f32_e32 v17, v79, v19
	v_mul_f32_e32 v8, v79, v18
	v_mul_f32_e32 v34, v95, v11
	v_fmac_f32_e32 v17, v78, v18
	v_fma_f32 v18, v78, v19, -v8
	s_waitcnt lgkmcnt(3)
	v_mul_f32_e32 v8, v97, v22
	v_fmac_f32_e32 v34, v94, v10
	v_fma_f32 v38, v96, v23, -v8
	v_mul_f32_e32 v8, v99, v12
	v_fma_f32 v39, v98, v13, -v8
	s_waitcnt lgkmcnt(1)
	v_mul_f32_e32 v40, v85, v27
	v_mul_f32_e32 v8, v85, v26
	v_add_f32_e32 v9, v34, v36
	v_mul_f32_e32 v37, v97, v23
	v_mul_f32_e32 v23, v99, v13
	v_fmac_f32_e32 v40, v84, v26
	v_fma_f32 v26, v84, v27, -v8
	v_mul_f32_e32 v8, v87, v20
	v_fma_f32 v10, -0.5, v9, v2
	v_fmac_f32_e32 v23, v98, v12
	v_fma_f32 v41, v86, v21, -v8
	v_mul_f32_e32 v8, v101, v24
	v_mul_f32_e32 v44, v103, v15
	v_sub_f32_e32 v9, v33, v18
	v_mov_b32_e32 v12, v10
	v_fma_f32 v43, v100, v25, -v8
	v_fmac_f32_e32 v44, v102, v14
	v_mul_f32_e32 v8, v103, v14
	v_fmac_f32_e32 v12, 0xbf737871, v9
	v_sub_f32_e32 v11, v35, v16
	v_sub_f32_e32 v13, v32, v34
	;; [unrolled: 1-line block ×3, first 2 shown]
	v_fmac_f32_e32 v10, 0x3f737871, v9
	v_fma_f32 v45, v102, v15, -v8
	v_mul_f32_e32 v8, v89, v28
	v_fmac_f32_e32 v12, 0xbf167918, v11
	v_add_f32_e32 v13, v13, v14
	v_fmac_f32_e32 v10, 0x3f167918, v11
	v_fma_f32 v47, v88, v29, -v8
	s_waitcnt lgkmcnt(0)
	v_mul_f32_e32 v8, v91, v30
	v_fmac_f32_e32 v12, 0x3e9e377a, v13
	v_fmac_f32_e32 v10, 0x3e9e377a, v13
	v_add_f32_e32 v13, v32, v17
	v_fma_f32 v48, v90, v31, -v8
	v_add_f32_e32 v8, v2, v32
	v_fma_f32 v2, -0.5, v13, v2
	v_mov_b32_e32 v14, v2
	v_add_f32_e32 v8, v8, v34
	v_fmac_f32_e32 v14, 0x3f737871, v11
	v_sub_f32_e32 v13, v34, v32
	v_sub_f32_e32 v15, v36, v17
	v_fmac_f32_e32 v2, 0xbf737871, v11
	v_add_f32_e32 v11, v35, v16
	v_add_f32_e32 v8, v8, v36
	v_fmac_f32_e32 v14, 0xbf167918, v9
	v_add_f32_e32 v13, v13, v15
	v_fmac_f32_e32 v2, 0x3f167918, v9
	v_fma_f32 v11, -0.5, v11, v3
	v_mul_f32_e32 v27, v87, v21
	v_add_f32_e32 v8, v8, v17
	v_fmac_f32_e32 v14, 0x3e9e377a, v13
	v_fmac_f32_e32 v2, 0x3e9e377a, v13
	v_sub_f32_e32 v17, v32, v17
	v_mov_b32_e32 v13, v11
	v_fmac_f32_e32 v27, v86, v20
	v_fmac_f32_e32 v13, 0x3f737871, v17
	v_sub_f32_e32 v19, v34, v36
	v_sub_f32_e32 v15, v33, v35
	;; [unrolled: 1-line block ×3, first 2 shown]
	v_fmac_f32_e32 v11, 0xbf737871, v17
	v_fmac_f32_e32 v13, 0x3f167918, v19
	v_add_f32_e32 v15, v15, v20
	v_fmac_f32_e32 v11, 0xbf167918, v19
	v_fmac_f32_e32 v13, 0x3e9e377a, v15
	;; [unrolled: 1-line block ×3, first 2 shown]
	v_add_f32_e32 v15, v33, v18
	v_add_f32_e32 v9, v3, v33
	v_fma_f32 v3, -0.5, v15, v3
	v_mov_b32_e32 v15, v3
	v_add_f32_e32 v9, v9, v35
	v_fmac_f32_e32 v15, 0xbf737871, v19
	v_fmac_f32_e32 v3, 0x3f737871, v19
	v_add_f32_e32 v9, v9, v16
	v_fmac_f32_e32 v15, 0x3f167918, v17
	v_fmac_f32_e32 v3, 0xbf167918, v17
	v_add_f32_e32 v17, v23, v40
	v_add_f32_e32 v9, v9, v18
	v_sub_f32_e32 v20, v35, v33
	v_sub_f32_e32 v16, v16, v18
	v_fma_f32 v18, -0.5, v17, v4
	v_fmac_f32_e32 v37, v96, v22
	v_add_f32_e32 v16, v20, v16
	v_sub_f32_e32 v17, v38, v41
	v_mov_b32_e32 v20, v18
	v_fmac_f32_e32 v20, 0xbf737871, v17
	v_sub_f32_e32 v19, v39, v26
	v_sub_f32_e32 v21, v37, v23
	;; [unrolled: 1-line block ×3, first 2 shown]
	v_fmac_f32_e32 v18, 0x3f737871, v17
	v_fmac_f32_e32 v20, 0xbf167918, v19
	v_add_f32_e32 v21, v21, v22
	v_fmac_f32_e32 v18, 0x3f167918, v19
	v_fmac_f32_e32 v20, 0x3e9e377a, v21
	;; [unrolled: 1-line block ×3, first 2 shown]
	v_add_f32_e32 v21, v37, v27
	v_fmac_f32_e32 v15, 0x3e9e377a, v16
	v_fmac_f32_e32 v3, 0x3e9e377a, v16
	v_add_f32_e32 v16, v4, v37
	v_fma_f32 v4, -0.5, v21, v4
	v_mul_f32_e32 v42, v101, v25
	v_mov_b32_e32 v22, v4
	v_fmac_f32_e32 v42, v100, v24
	v_fmac_f32_e32 v22, 0x3f737871, v19
	v_sub_f32_e32 v21, v23, v37
	v_sub_f32_e32 v24, v40, v27
	v_fmac_f32_e32 v4, 0xbf737871, v19
	v_add_f32_e32 v19, v39, v26
	v_add_f32_e32 v16, v16, v23
	v_fmac_f32_e32 v22, 0xbf167918, v17
	v_add_f32_e32 v21, v21, v24
	v_fmac_f32_e32 v4, 0x3f167918, v17
	v_fma_f32 v19, -0.5, v19, v5
	v_add_f32_e32 v16, v16, v40
	v_fmac_f32_e32 v22, 0x3e9e377a, v21
	v_fmac_f32_e32 v4, 0x3e9e377a, v21
	v_sub_f32_e32 v24, v37, v27
	v_mov_b32_e32 v21, v19
	v_add_f32_e32 v16, v16, v27
	v_fmac_f32_e32 v21, 0x3f737871, v24
	v_sub_f32_e32 v25, v23, v40
	v_sub_f32_e32 v23, v38, v39
	;; [unrolled: 1-line block ×3, first 2 shown]
	v_fmac_f32_e32 v19, 0xbf737871, v24
	v_fmac_f32_e32 v21, 0x3f167918, v25
	v_add_f32_e32 v23, v23, v27
	v_fmac_f32_e32 v19, 0xbf167918, v25
	v_fmac_f32_e32 v21, 0x3e9e377a, v23
	;; [unrolled: 1-line block ×3, first 2 shown]
	v_add_f32_e32 v23, v38, v41
	v_add_f32_e32 v17, v5, v38
	v_fmac_f32_e32 v5, -0.5, v23
	v_mul_f32_e32 v46, v89, v29
	v_add_f32_e32 v17, v17, v39
	v_mov_b32_e32 v23, v5
	v_fmac_f32_e32 v46, v88, v28
	v_add_f32_e32 v17, v17, v26
	v_fmac_f32_e32 v23, 0xbf737871, v25
	v_sub_f32_e32 v27, v39, v38
	v_sub_f32_e32 v26, v26, v41
	v_fmac_f32_e32 v5, 0x3f737871, v25
	v_fmac_f32_e32 v23, 0x3f167918, v24
	v_add_f32_e32 v26, v27, v26
	v_fmac_f32_e32 v5, 0xbf167918, v24
	v_add_f32_e32 v25, v44, v46
	v_mul_f32_e32 v29, v91, v31
	v_fmac_f32_e32 v23, 0x3e9e377a, v26
	v_fmac_f32_e32 v5, 0x3e9e377a, v26
	v_fma_f32 v26, -0.5, v25, v6
	v_fmac_f32_e32 v29, v90, v30
	v_sub_f32_e32 v25, v43, v48
	v_mov_b32_e32 v28, v26
	v_fmac_f32_e32 v28, 0xbf737871, v25
	v_sub_f32_e32 v27, v45, v47
	v_sub_f32_e32 v30, v42, v44
	;; [unrolled: 1-line block ×3, first 2 shown]
	v_fmac_f32_e32 v26, 0x3f737871, v25
	v_fmac_f32_e32 v28, 0xbf167918, v27
	v_add_f32_e32 v30, v30, v31
	v_fmac_f32_e32 v26, 0x3f167918, v27
	v_fmac_f32_e32 v28, 0x3e9e377a, v30
	;; [unrolled: 1-line block ×3, first 2 shown]
	v_add_f32_e32 v30, v42, v29
	v_add_f32_e32 v24, v6, v42
	v_fma_f32 v6, -0.5, v30, v6
	v_mov_b32_e32 v30, v6
	v_add_f32_e32 v24, v24, v44
	v_fmac_f32_e32 v30, 0x3f737871, v27
	v_fmac_f32_e32 v6, 0xbf737871, v27
	v_add_f32_e32 v27, v45, v47
	v_add_f32_e32 v24, v24, v46
	v_sub_f32_e32 v31, v44, v42
	v_sub_f32_e32 v32, v46, v29
	v_fma_f32 v27, -0.5, v27, v7
	v_add_f32_e32 v24, v24, v29
	v_fmac_f32_e32 v30, 0xbf167918, v25
	v_add_f32_e32 v31, v31, v32
	v_fmac_f32_e32 v6, 0x3f167918, v25
	v_sub_f32_e32 v32, v42, v29
	v_mov_b32_e32 v29, v27
	v_fmac_f32_e32 v30, 0x3e9e377a, v31
	v_fmac_f32_e32 v6, 0x3e9e377a, v31
	;; [unrolled: 1-line block ×3, first 2 shown]
	v_sub_f32_e32 v33, v44, v46
	v_sub_f32_e32 v31, v43, v45
	;; [unrolled: 1-line block ×3, first 2 shown]
	v_fmac_f32_e32 v27, 0xbf737871, v32
	v_fmac_f32_e32 v29, 0x3f167918, v33
	v_add_f32_e32 v31, v31, v34
	v_fmac_f32_e32 v27, 0xbf167918, v33
	v_fmac_f32_e32 v29, 0x3e9e377a, v31
	;; [unrolled: 1-line block ×3, first 2 shown]
	v_add_f32_e32 v31, v43, v48
	v_add_f32_e32 v25, v7, v43
	v_fmac_f32_e32 v7, -0.5, v31
	v_mov_b32_e32 v31, v7
	v_add_f32_e32 v25, v25, v45
	v_fmac_f32_e32 v31, 0xbf737871, v33
	v_sub_f32_e32 v34, v45, v43
	v_sub_f32_e32 v35, v47, v48
	v_fmac_f32_e32 v7, 0x3f737871, v33
	v_add_f32_e32 v25, v25, v47
	v_fmac_f32_e32 v31, 0x3f167918, v32
	v_add_f32_e32 v34, v34, v35
	;; [unrolled: 2-line block ×3, first 2 shown]
	v_add_f32_e32 v25, v25, v48
	v_fmac_f32_e32 v31, 0x3e9e377a, v34
	v_fmac_f32_e32 v7, 0x3e9e377a, v34
	ds_write_b64 v177, v[12:13] offset:3024
	ds_write_b64 v177, v[14:15] offset:6048
	;; [unrolled: 1-line block ×4, first 2 shown]
	ds_write2_b64 v177, v[8:9], v[16:17] offset1:126
	ds_write_b64 v177, v[22:23] offset:7056
	ds_write_b64 v177, v[4:5] offset:10080
	;; [unrolled: 1-line block ×4, first 2 shown]
	ds_write2_b64 v0, v[20:21], v[28:29] offset0:120 offset1:246
	ds_write_b64 v177, v[30:31] offset:8064
	ds_write_b64 v177, v[6:7] offset:11088
	;; [unrolled: 1-line block ×3, first 2 shown]
	s_waitcnt lgkmcnt(0)
	s_barrier
	ds_read2_b64 v[2:5], v177 offset1:126
	v_mad_u64_u32 v[10:11], s[2:3], s10, v150, 0
	s_mov_b32 s2, 0xbc011567
	s_mov_b32 s3, 0x3f41566a
	s_waitcnt lgkmcnt(0)
	v_mul_f32_e32 v6, v160, v3
	v_fmac_f32_e32 v6, v159, v2
	v_cvt_f64_f32_e32 v[6:7], v6
	v_mul_f32_e32 v2, v160, v2
	v_fma_f32 v2, v159, v3, -v2
	v_cvt_f64_f32_e32 v[2:3], v2
	v_mul_f64 v[6:7], v[6:7], s[2:3]
	v_mad_u64_u32 v[12:13], s[4:5], s8, v178, 0
	v_mov_b32_e32 v8, v11
	v_mad_u64_u32 v[8:9], s[4:5], s11, v150, v[8:9]
	v_mul_f64 v[2:3], v[2:3], s[2:3]
	s_mul_hi_u32 s7, s8, 0xfffffccd
	v_cvt_f32_f64_e32 v14, v[6:7]
	v_mov_b32_e32 v6, v13
	v_mad_u64_u32 v[16:17], s[4:5], s9, v178, v[6:7]
	v_add_u32_e32 v6, 0x1600, v177
	v_mov_b32_e32 v11, v8
	ds_read2_b64 v[6:9], v6 offset0:52 offset1:241
	v_cvt_f32_f64_e32 v15, v[2:3]
	v_lshlrev_b64 v[2:3], 3, v[10:11]
	v_mov_b32_e32 v13, v16
	v_mov_b32_e32 v16, s13
	s_waitcnt lgkmcnt(0)
	v_mul_f32_e32 v10, v158, v9
	v_fmac_f32_e32 v10, v157, v8
	v_mul_f32_e32 v8, v158, v8
	v_fma_f32 v8, v157, v9, -v8
	v_cvt_f64_f32_e32 v[10:11], v10
	v_cvt_f64_f32_e32 v[8:9], v8
	v_add_co_u32_e32 v17, vcc, s12, v2
	v_addc_co_u32_e32 v16, vcc, v16, v3, vcc
	v_mul_f64 v[2:3], v[10:11], s[2:3]
	v_mul_f64 v[8:9], v[8:9], s[2:3]
	v_lshlrev_b64 v[10:11], 3, v[12:13]
	s_mul_i32 s4, s9, 0x3b1
	s_mul_hi_u32 s5, s8, 0x3b1
	v_add_co_u32_e32 v10, vcc, v17, v10
	s_add_i32 s5, s5, s4
	v_cvt_f32_f64_e32 v2, v[2:3]
	v_cvt_f32_f64_e32 v3, v[8:9]
	v_mul_f32_e32 v8, v154, v5
	v_fmac_f32_e32 v8, v153, v4
	v_mul_f32_e32 v4, v154, v4
	v_fma_f32 v4, v153, v5, -v4
	v_cvt_f64_f32_e32 v[4:5], v4
	v_cvt_f64_f32_e32 v[8:9], v8
	s_mul_i32 s4, s8, 0x3b1
	v_addc_co_u32_e32 v11, vcc, v16, v11, vcc
	v_mul_f64 v[4:5], v[4:5], s[2:3]
	s_lshl_b64 s[4:5], s[4:5], 3
	v_mul_f64 v[8:9], v[8:9], s[2:3]
	v_mov_b32_e32 v18, s5
	v_add_co_u32_e32 v12, vcc, s4, v10
	v_addc_co_u32_e32 v13, vcc, v11, v18, vcc
	global_store_dwordx2 v[10:11], v[14:15], off
	global_store_dwordx2 v[12:13], v[2:3], off
	v_add_u32_e32 v2, 0x2000, v177
	v_cvt_f32_f64_e32 v15, v[4:5]
	ds_read2_b64 v[2:5], v2 offset0:47 offset1:173
	v_cvt_f32_f64_e32 v14, v[8:9]
	s_mul_i32 s6, s9, 0xfffffccd
	s_sub_i32 s7, s7, s8
	s_add_i32 s7, s7, s6
	s_waitcnt lgkmcnt(0)
	v_mul_f32_e32 v8, v156, v3
	v_fmac_f32_e32 v8, v155, v2
	v_mul_f32_e32 v2, v156, v2
	v_fma_f32 v2, v155, v3, -v2
	v_cvt_f64_f32_e32 v[2:3], v2
	v_cvt_f64_f32_e32 v[8:9], v8
	s_mul_i32 s6, s8, 0xfffffccd
	s_lshl_b64 s[6:7], s[6:7], 3
	v_mul_f64 v[2:3], v[2:3], s[2:3]
	v_mul_f64 v[16:17], v[8:9], s[2:3]
	ds_read2_b64 v[8:11], v1 offset0:124 offset1:250
	v_mov_b32_e32 v19, s7
	v_add_co_u32_e32 v12, vcc, s6, v12
	v_addc_co_u32_e32 v13, vcc, v13, v19, vcc
	v_cvt_f32_f64_e32 v2, v[2:3]
	s_waitcnt lgkmcnt(0)
	v_mul_f32_e32 v3, v152, v9
	v_fmac_f32_e32 v3, v151, v8
	global_store_dwordx2 v[12:13], v[14:15], off
	v_cvt_f64_f32_e32 v[14:15], v3
	v_mul_f32_e32 v3, v152, v8
	v_fma_f32 v3, v151, v9, -v3
	v_cvt_f64_f32_e32 v[8:9], v3
	v_mul_f64 v[14:15], v[14:15], s[2:3]
	v_mul_f32_e32 v3, v147, v5
	v_fmac_f32_e32 v3, v146, v4
	v_mul_f64 v[8:9], v[8:9], s[2:3]
	v_cvt_f32_f64_e32 v1, v[16:17]
	v_cvt_f64_f32_e32 v[16:17], v3
	v_mul_f32_e32 v3, v147, v4
	v_add_co_u32_e32 v12, vcc, s4, v12
	v_fma_f32 v3, v146, v5, -v3
	v_addc_co_u32_e32 v13, vcc, v13, v18, vcc
	v_cvt_f64_f32_e32 v[3:4], v3
	global_store_dwordx2 v[12:13], v[1:2], off
	v_cvt_f32_f64_e32 v1, v[14:15]
	v_mul_f64 v[14:15], v[16:17], s[2:3]
	v_cvt_f32_f64_e32 v2, v[8:9]
	v_mul_f64 v[3:4], v[3:4], s[2:3]
	v_add_co_u32_e32 v8, vcc, s6, v12
	v_addc_co_u32_e32 v9, vcc, v13, v19, vcc
	global_store_dwordx2 v[8:9], v[1:2], off
	v_mul_f32_e32 v1, v145, v11
	v_fmac_f32_e32 v1, v144, v10
	v_cvt_f32_f64_e32 v12, v[14:15]
	v_cvt_f64_f32_e32 v[14:15], v1
	v_mul_f32_e32 v1, v145, v10
	v_fma_f32 v1, v144, v11, -v1
	v_cvt_f64_f32_e32 v[10:11], v1
	v_add_u32_e32 v1, 0x2800, v177
	v_cvt_f32_f64_e32 v13, v[3:4]
	ds_read2_b64 v[1:4], v1 offset0:43 offset1:169
	v_add_co_u32_e32 v16, vcc, s4, v8
	v_addc_co_u32_e32 v17, vcc, v9, v18, vcc
	s_waitcnt lgkmcnt(0)
	v_mul_f32_e32 v5, v149, v2
	v_fmac_f32_e32 v5, v148, v1
	v_mul_f32_e32 v1, v149, v1
	v_mul_f64 v[8:9], v[14:15], s[2:3]
	v_mul_f64 v[10:11], v[10:11], s[2:3]
	v_fma_f32 v1, v148, v2, -v1
	v_cvt_f64_f32_e32 v[1:2], v1
	global_store_dwordx2 v[16:17], v[12:13], off
	v_cvt_f64_f32_e32 v[12:13], v5
	v_add_co_u32_e32 v16, vcc, s6, v16
	v_mul_f64 v[1:2], v[1:2], s[2:3]
	v_mul_f64 v[12:13], v[12:13], s[2:3]
	v_cvt_f32_f64_e32 v14, v[8:9]
	v_cvt_f32_f64_e32 v15, v[10:11]
	ds_read2_b64 v[8:11], v0 offset0:120 offset1:246
	v_addc_co_u32_e32 v17, vcc, v17, v19, vcc
	global_store_dwordx2 v[16:17], v[14:15], off
	v_cvt_f32_f64_e32 v1, v[1:2]
	s_waitcnt lgkmcnt(0)
	v_mul_f32_e32 v2, v143, v9
	v_fmac_f32_e32 v2, v142, v8
	v_cvt_f32_f64_e32 v0, v[12:13]
	v_cvt_f64_f32_e32 v[12:13], v2
	v_mul_f32_e32 v2, v143, v8
	v_fma_f32 v2, v142, v9, -v2
	v_cvt_f64_f32_e32 v[8:9], v2
	v_mul_f64 v[12:13], v[12:13], s[2:3]
	v_mul_f32_e32 v2, v141, v4
	v_add_co_u32_e32 v14, vcc, s4, v16
	v_mul_f64 v[8:9], v[8:9], s[2:3]
	v_fmac_f32_e32 v2, v140, v3
	v_addc_co_u32_e32 v15, vcc, v17, v18, vcc
	v_cvt_f64_f32_e32 v[16:17], v2
	v_mul_f32_e32 v2, v141, v3
	v_fma_f32 v2, v140, v4, -v2
	v_cvt_f64_f32_e32 v[2:3], v2
	global_store_dwordx2 v[14:15], v[0:1], off
	v_cvt_f32_f64_e32 v0, v[12:13]
	v_cvt_f32_f64_e32 v1, v[8:9]
	v_mul_f64 v[4:5], v[16:17], s[2:3]
	v_mul_f64 v[2:3], v[2:3], s[2:3]
	v_add_co_u32_e32 v8, vcc, s6, v14
	v_addc_co_u32_e32 v9, vcc, v15, v19, vcc
	global_store_dwordx2 v[8:9], v[0:1], off
	v_mul_f32_e32 v0, v139, v11
	v_fmac_f32_e32 v0, v138, v10
	v_cvt_f64_f32_e32 v[12:13], v0
	v_mul_f32_e32 v0, v139, v10
	v_fma_f32 v0, v138, v11, -v0
	v_cvt_f64_f32_e32 v[10:11], v0
	v_add_u32_e32 v0, 0x3000, v177
	v_cvt_f32_f64_e32 v4, v[4:5]
	v_cvt_f32_f64_e32 v5, v[2:3]
	ds_read2_b64 v[0:3], v0 offset0:39 offset1:165
	v_add_co_u32_e32 v8, vcc, s4, v8
	v_addc_co_u32_e32 v9, vcc, v9, v18, vcc
	global_store_dwordx2 v[8:9], v[4:5], off
	v_mul_f64 v[4:5], v[12:13], s[2:3]
	s_waitcnt lgkmcnt(0)
	v_mul_f32_e32 v12, v137, v1
	v_mul_f64 v[10:11], v[10:11], s[2:3]
	v_fmac_f32_e32 v12, v136, v0
	v_mul_f32_e32 v0, v137, v0
	v_fma_f32 v0, v136, v1, -v0
	v_cvt_f64_f32_e32 v[0:1], v0
	v_cvt_f64_f32_e32 v[12:13], v12
	v_cvt_f32_f64_e32 v4, v[4:5]
	v_add_co_u32_e32 v8, vcc, s6, v8
	v_mul_f64 v[0:1], v[0:1], s[2:3]
	v_cvt_f32_f64_e32 v5, v[10:11]
	v_mul_f64 v[10:11], v[12:13], s[2:3]
	v_addc_co_u32_e32 v9, vcc, v9, v19, vcc
	global_store_dwordx2 v[8:9], v[4:5], off
	v_add_co_u32_e32 v8, vcc, s4, v8
	v_cvt_f32_f64_e32 v5, v[0:1]
	v_mul_f32_e32 v0, v135, v7
	v_fmac_f32_e32 v0, v134, v6
	v_mul_f32_e32 v6, v135, v6
	v_cvt_f32_f64_e32 v4, v[10:11]
	v_fma_f32 v6, v134, v7, -v6
	v_mul_f32_e32 v10, v133, v3
	v_cvt_f64_f32_e32 v[0:1], v0
	v_cvt_f64_f32_e32 v[6:7], v6
	v_fmac_f32_e32 v10, v132, v2
	v_mul_f32_e32 v2, v133, v2
	v_fma_f32 v2, v132, v3, -v2
	v_cvt_f64_f32_e32 v[10:11], v10
	v_cvt_f64_f32_e32 v[2:3], v2
	v_mul_f64 v[0:1], v[0:1], s[2:3]
	v_mul_f64 v[6:7], v[6:7], s[2:3]
	v_addc_co_u32_e32 v9, vcc, v9, v18, vcc
	global_store_dwordx2 v[8:9], v[4:5], off
	v_mul_f64 v[4:5], v[10:11], s[2:3]
	v_mul_f64 v[2:3], v[2:3], s[2:3]
	s_movk_i32 s8, 0x3000
	v_cvt_f32_f64_e32 v0, v[0:1]
	v_cvt_f32_f64_e32 v1, v[6:7]
	v_add_co_u32_e32 v6, vcc, s6, v8
	v_addc_co_u32_e32 v7, vcc, v9, v19, vcc
	v_cvt_f32_f64_e32 v4, v[4:5]
	v_cvt_f32_f64_e32 v5, v[2:3]
	global_store_dwordx2 v[6:7], v[0:1], off
	v_add_co_u32_e32 v0, vcc, s4, v6
	v_addc_co_u32_e32 v1, vcc, v7, v18, vcc
	global_store_dwordx2 v[0:1], v[4:5], off
	s_and_b64 exec, exec, s[0:1]
	s_cbranch_execz .LBB0_23
; %bb.22:
	v_add_co_u32_e32 v2, vcc, 0x1000, v175
	v_addc_co_u32_e32 v3, vcc, 0, v176, vcc
	global_load_dwordx2 v[2:3], v[2:3], off offset:2960
	ds_read_b64 v[4:5], v177 offset:7056
	ds_read_b64 v[6:7], v177 offset:14616
	v_mov_b32_e32 v10, s7
	s_waitcnt vmcnt(0) lgkmcnt(1)
	v_mul_f32_e32 v8, v5, v3
	v_mul_f32_e32 v3, v4, v3
	v_fmac_f32_e32 v8, v4, v2
	v_fma_f32 v4, v2, v5, -v3
	v_cvt_f64_f32_e32 v[2:3], v8
	v_cvt_f64_f32_e32 v[4:5], v4
	v_add_co_u32_e32 v8, vcc, s8, v175
	v_mul_f64 v[2:3], v[2:3], s[2:3]
	v_mul_f64 v[4:5], v[4:5], s[2:3]
	v_addc_co_u32_e32 v9, vcc, 0, v176, vcc
	v_add_co_u32_e32 v0, vcc, s6, v0
	v_addc_co_u32_e32 v1, vcc, v1, v10, vcc
	v_cvt_f32_f64_e32 v2, v[2:3]
	v_cvt_f32_f64_e32 v3, v[4:5]
	global_store_dwordx2 v[0:1], v[2:3], off
	global_load_dwordx2 v[2:3], v[8:9], off offset:2328
	v_add_co_u32_e32 v0, vcc, s4, v0
	s_waitcnt vmcnt(0) lgkmcnt(0)
	v_mul_f32_e32 v4, v7, v3
	v_mul_f32_e32 v3, v6, v3
	v_fmac_f32_e32 v4, v6, v2
	v_fma_f32 v5, v2, v7, -v3
	v_cvt_f64_f32_e32 v[2:3], v4
	v_cvt_f64_f32_e32 v[4:5], v5
	v_mov_b32_e32 v6, s5
	v_addc_co_u32_e32 v1, vcc, v1, v6, vcc
	v_mul_f64 v[2:3], v[2:3], s[2:3]
	v_mul_f64 v[4:5], v[4:5], s[2:3]
	v_cvt_f32_f64_e32 v2, v[2:3]
	v_cvt_f32_f64_e32 v3, v[4:5]
	global_store_dwordx2 v[0:1], v[2:3], off
.LBB0_23:
	s_endpgm
	.section	.rodata,"a",@progbits
	.p2align	6, 0x0
	.amdhsa_kernel bluestein_single_fwd_len1890_dim1_sp_op_CI_CI
		.amdhsa_group_segment_fixed_size 15120
		.amdhsa_private_segment_fixed_size 0
		.amdhsa_kernarg_size 104
		.amdhsa_user_sgpr_count 6
		.amdhsa_user_sgpr_private_segment_buffer 1
		.amdhsa_user_sgpr_dispatch_ptr 0
		.amdhsa_user_sgpr_queue_ptr 0
		.amdhsa_user_sgpr_kernarg_segment_ptr 1
		.amdhsa_user_sgpr_dispatch_id 0
		.amdhsa_user_sgpr_flat_scratch_init 0
		.amdhsa_user_sgpr_private_segment_size 0
		.amdhsa_uses_dynamic_stack 0
		.amdhsa_system_sgpr_private_segment_wavefront_offset 0
		.amdhsa_system_sgpr_workgroup_id_x 1
		.amdhsa_system_sgpr_workgroup_id_y 0
		.amdhsa_system_sgpr_workgroup_id_z 0
		.amdhsa_system_sgpr_workgroup_info 0
		.amdhsa_system_vgpr_workitem_id 0
		.amdhsa_next_free_vgpr 234
		.amdhsa_next_free_sgpr 20
		.amdhsa_reserve_vcc 1
		.amdhsa_reserve_flat_scratch 0
		.amdhsa_float_round_mode_32 0
		.amdhsa_float_round_mode_16_64 0
		.amdhsa_float_denorm_mode_32 3
		.amdhsa_float_denorm_mode_16_64 3
		.amdhsa_dx10_clamp 1
		.amdhsa_ieee_mode 1
		.amdhsa_fp16_overflow 0
		.amdhsa_exception_fp_ieee_invalid_op 0
		.amdhsa_exception_fp_denorm_src 0
		.amdhsa_exception_fp_ieee_div_zero 0
		.amdhsa_exception_fp_ieee_overflow 0
		.amdhsa_exception_fp_ieee_underflow 0
		.amdhsa_exception_fp_ieee_inexact 0
		.amdhsa_exception_int_div_zero 0
	.end_amdhsa_kernel
	.text
.Lfunc_end0:
	.size	bluestein_single_fwd_len1890_dim1_sp_op_CI_CI, .Lfunc_end0-bluestein_single_fwd_len1890_dim1_sp_op_CI_CI
                                        ; -- End function
	.section	.AMDGPU.csdata,"",@progbits
; Kernel info:
; codeLenInByte = 17432
; NumSgprs: 24
; NumVgprs: 234
; ScratchSize: 0
; MemoryBound: 0
; FloatMode: 240
; IeeeMode: 1
; LDSByteSize: 15120 bytes/workgroup (compile time only)
; SGPRBlocks: 2
; VGPRBlocks: 58
; NumSGPRsForWavesPerEU: 24
; NumVGPRsForWavesPerEU: 234
; Occupancy: 1
; WaveLimiterHint : 1
; COMPUTE_PGM_RSRC2:SCRATCH_EN: 0
; COMPUTE_PGM_RSRC2:USER_SGPR: 6
; COMPUTE_PGM_RSRC2:TRAP_HANDLER: 0
; COMPUTE_PGM_RSRC2:TGID_X_EN: 1
; COMPUTE_PGM_RSRC2:TGID_Y_EN: 0
; COMPUTE_PGM_RSRC2:TGID_Z_EN: 0
; COMPUTE_PGM_RSRC2:TIDIG_COMP_CNT: 0
	.type	__hip_cuid_9b104e8064f55b2f,@object ; @__hip_cuid_9b104e8064f55b2f
	.section	.bss,"aw",@nobits
	.globl	__hip_cuid_9b104e8064f55b2f
__hip_cuid_9b104e8064f55b2f:
	.byte	0                               ; 0x0
	.size	__hip_cuid_9b104e8064f55b2f, 1

	.ident	"AMD clang version 19.0.0git (https://github.com/RadeonOpenCompute/llvm-project roc-6.4.0 25133 c7fe45cf4b819c5991fe208aaa96edf142730f1d)"
	.section	".note.GNU-stack","",@progbits
	.addrsig
	.addrsig_sym __hip_cuid_9b104e8064f55b2f
	.amdgpu_metadata
---
amdhsa.kernels:
  - .args:
      - .actual_access:  read_only
        .address_space:  global
        .offset:         0
        .size:           8
        .value_kind:     global_buffer
      - .actual_access:  read_only
        .address_space:  global
        .offset:         8
        .size:           8
        .value_kind:     global_buffer
      - .actual_access:  read_only
        .address_space:  global
        .offset:         16
        .size:           8
        .value_kind:     global_buffer
      - .actual_access:  read_only
        .address_space:  global
        .offset:         24
        .size:           8
        .value_kind:     global_buffer
      - .actual_access:  read_only
        .address_space:  global
        .offset:         32
        .size:           8
        .value_kind:     global_buffer
      - .offset:         40
        .size:           8
        .value_kind:     by_value
      - .address_space:  global
        .offset:         48
        .size:           8
        .value_kind:     global_buffer
      - .address_space:  global
        .offset:         56
        .size:           8
        .value_kind:     global_buffer
      - .address_space:  global
        .offset:         64
        .size:           8
        .value_kind:     global_buffer
      - .address_space:  global
        .offset:         72
        .size:           8
        .value_kind:     global_buffer
      - .offset:         80
        .size:           4
        .value_kind:     by_value
      - .address_space:  global
        .offset:         88
        .size:           8
        .value_kind:     global_buffer
      - .address_space:  global
        .offset:         96
        .size:           8
        .value_kind:     global_buffer
    .group_segment_fixed_size: 15120
    .kernarg_segment_align: 8
    .kernarg_segment_size: 104
    .language:       OpenCL C
    .language_version:
      - 2
      - 0
    .max_flat_workgroup_size: 126
    .name:           bluestein_single_fwd_len1890_dim1_sp_op_CI_CI
    .private_segment_fixed_size: 0
    .sgpr_count:     24
    .sgpr_spill_count: 0
    .symbol:         bluestein_single_fwd_len1890_dim1_sp_op_CI_CI.kd
    .uniform_work_group_size: 1
    .uses_dynamic_stack: false
    .vgpr_count:     234
    .vgpr_spill_count: 0
    .wavefront_size: 64
amdhsa.target:   amdgcn-amd-amdhsa--gfx906
amdhsa.version:
  - 1
  - 2
...

	.end_amdgpu_metadata
